;; amdgpu-corpus repo=ROCm/rocFFT kind=compiled arch=gfx950 opt=O3
	.text
	.amdgcn_target "amdgcn-amd-amdhsa--gfx950"
	.amdhsa_code_object_version 6
	.protected	fft_rtc_fwd_len1925_factors_7_11_5_5_wgs_55_tpt_55_halfLds_half_ip_CI_unitstride_sbrr_dirReg ; -- Begin function fft_rtc_fwd_len1925_factors_7_11_5_5_wgs_55_tpt_55_halfLds_half_ip_CI_unitstride_sbrr_dirReg
	.globl	fft_rtc_fwd_len1925_factors_7_11_5_5_wgs_55_tpt_55_halfLds_half_ip_CI_unitstride_sbrr_dirReg
	.p2align	8
	.type	fft_rtc_fwd_len1925_factors_7_11_5_5_wgs_55_tpt_55_halfLds_half_ip_CI_unitstride_sbrr_dirReg,@function
fft_rtc_fwd_len1925_factors_7_11_5_5_wgs_55_tpt_55_halfLds_half_ip_CI_unitstride_sbrr_dirReg: ; @fft_rtc_fwd_len1925_factors_7_11_5_5_wgs_55_tpt_55_halfLds_half_ip_CI_unitstride_sbrr_dirReg
; %bb.0:
	s_load_dwordx2 s[8:9], s[0:1], 0x50
	s_load_dwordx4 s[4:7], s[0:1], 0x0
	s_load_dwordx2 s[10:11], s[0:1], 0x18
	v_mul_u32_u24_e32 v1, 0x4a8, v0
	v_add_u32_sdwa v6, s2, v1 dst_sel:DWORD dst_unused:UNUSED_PAD src0_sel:DWORD src1_sel:WORD_1
	v_mov_b32_e32 v4, 0
	s_waitcnt lgkmcnt(0)
	v_cmp_lt_u64_e64 s[2:3], s[6:7], 2
	v_mov_b32_e32 v7, v4
	s_and_b64 vcc, exec, s[2:3]
	v_mov_b64_e32 v[2:3], 0
	s_cbranch_vccnz .LBB0_8
; %bb.1:
	s_load_dwordx2 s[2:3], s[0:1], 0x10
	s_add_u32 s12, s10, 8
	s_addc_u32 s13, s11, 0
	s_mov_b64 s[14:15], 1
	v_mov_b64_e32 v[2:3], 0
	s_waitcnt lgkmcnt(0)
	s_add_u32 s16, s2, 8
	s_addc_u32 s17, s3, 0
.LBB0_2:                                ; =>This Inner Loop Header: Depth=1
	s_load_dwordx2 s[18:19], s[16:17], 0x0
                                        ; implicit-def: $vgpr8_vgpr9
	s_waitcnt lgkmcnt(0)
	v_or_b32_e32 v5, s19, v7
	v_cmp_ne_u64_e32 vcc, 0, v[4:5]
	s_and_saveexec_b64 s[2:3], vcc
	s_xor_b64 s[20:21], exec, s[2:3]
	s_cbranch_execz .LBB0_4
; %bb.3:                                ;   in Loop: Header=BB0_2 Depth=1
	v_cvt_f32_u32_e32 v1, s18
	v_cvt_f32_u32_e32 v5, s19
	s_sub_u32 s2, 0, s18
	s_subb_u32 s3, 0, s19
	v_fmac_f32_e32 v1, 0x4f800000, v5
	v_rcp_f32_e32 v1, v1
	s_nop 0
	v_mul_f32_e32 v1, 0x5f7ffffc, v1
	v_mul_f32_e32 v5, 0x2f800000, v1
	v_trunc_f32_e32 v5, v5
	v_fmac_f32_e32 v1, 0xcf800000, v5
	v_cvt_u32_f32_e32 v5, v5
	v_cvt_u32_f32_e32 v1, v1
	v_mul_lo_u32 v8, s2, v5
	v_mul_hi_u32 v10, s2, v1
	v_mul_lo_u32 v9, s3, v1
	v_add_u32_e32 v10, v10, v8
	v_mul_lo_u32 v12, s2, v1
	v_add_u32_e32 v13, v10, v9
	v_mul_hi_u32 v8, v1, v12
	v_mul_hi_u32 v11, v1, v13
	v_mul_lo_u32 v10, v1, v13
	v_mov_b32_e32 v9, v4
	v_lshl_add_u64 v[8:9], v[8:9], 0, v[10:11]
	v_mul_hi_u32 v11, v5, v12
	v_mul_lo_u32 v12, v5, v12
	v_add_co_u32_e32 v8, vcc, v8, v12
	v_mul_hi_u32 v10, v5, v13
	s_nop 0
	v_addc_co_u32_e32 v8, vcc, v9, v11, vcc
	v_mov_b32_e32 v9, v4
	s_nop 0
	v_addc_co_u32_e32 v11, vcc, 0, v10, vcc
	v_mul_lo_u32 v10, v5, v13
	v_lshl_add_u64 v[8:9], v[8:9], 0, v[10:11]
	v_add_co_u32_e32 v1, vcc, v1, v8
	v_mul_lo_u32 v10, s2, v1
	s_nop 0
	v_addc_co_u32_e32 v5, vcc, v5, v9, vcc
	v_mul_lo_u32 v8, s2, v5
	v_mul_hi_u32 v9, s2, v1
	v_add_u32_e32 v8, v9, v8
	v_mul_lo_u32 v9, s3, v1
	v_add_u32_e32 v12, v8, v9
	v_mul_hi_u32 v14, v5, v10
	v_mul_lo_u32 v15, v5, v10
	v_mul_hi_u32 v9, v1, v12
	v_mul_lo_u32 v8, v1, v12
	v_mul_hi_u32 v10, v1, v10
	v_mov_b32_e32 v11, v4
	v_lshl_add_u64 v[8:9], v[10:11], 0, v[8:9]
	v_add_co_u32_e32 v8, vcc, v8, v15
	v_mul_hi_u32 v13, v5, v12
	s_nop 0
	v_addc_co_u32_e32 v8, vcc, v9, v14, vcc
	v_mul_lo_u32 v10, v5, v12
	s_nop 0
	v_addc_co_u32_e32 v11, vcc, 0, v13, vcc
	v_mov_b32_e32 v9, v4
	v_lshl_add_u64 v[8:9], v[8:9], 0, v[10:11]
	v_add_co_u32_e32 v1, vcc, v1, v8
	v_mul_hi_u32 v10, v6, v1
	s_nop 0
	v_addc_co_u32_e32 v5, vcc, v5, v9, vcc
	v_mad_u64_u32 v[8:9], s[2:3], v6, v5, 0
	v_mov_b32_e32 v11, v4
	v_lshl_add_u64 v[8:9], v[10:11], 0, v[8:9]
	v_mad_u64_u32 v[12:13], s[2:3], v7, v1, 0
	v_add_co_u32_e32 v1, vcc, v8, v12
	v_mad_u64_u32 v[10:11], s[2:3], v7, v5, 0
	s_nop 0
	v_addc_co_u32_e32 v8, vcc, v9, v13, vcc
	v_mov_b32_e32 v9, v4
	s_nop 0
	v_addc_co_u32_e32 v11, vcc, 0, v11, vcc
	v_lshl_add_u64 v[8:9], v[8:9], 0, v[10:11]
	v_mul_lo_u32 v1, s19, v8
	v_mul_lo_u32 v5, s18, v9
	v_mad_u64_u32 v[10:11], s[2:3], s18, v8, 0
	v_add3_u32 v1, v11, v5, v1
	v_sub_u32_e32 v5, v7, v1
	v_mov_b32_e32 v11, s19
	v_sub_co_u32_e32 v14, vcc, v6, v10
	v_lshl_add_u64 v[12:13], v[8:9], 0, 1
	s_nop 0
	v_subb_co_u32_e64 v5, s[2:3], v5, v11, vcc
	v_subrev_co_u32_e64 v10, s[2:3], s18, v14
	v_subb_co_u32_e32 v1, vcc, v7, v1, vcc
	s_nop 0
	v_subbrev_co_u32_e64 v5, s[2:3], 0, v5, s[2:3]
	v_cmp_le_u32_e64 s[2:3], s19, v5
	v_cmp_le_u32_e32 vcc, s19, v1
	s_nop 0
	v_cndmask_b32_e64 v11, 0, -1, s[2:3]
	v_cmp_le_u32_e64 s[2:3], s18, v10
	s_nop 1
	v_cndmask_b32_e64 v10, 0, -1, s[2:3]
	v_cmp_eq_u32_e64 s[2:3], s19, v5
	s_nop 1
	v_cndmask_b32_e64 v5, v11, v10, s[2:3]
	v_lshl_add_u64 v[10:11], v[8:9], 0, 2
	v_cmp_ne_u32_e64 s[2:3], 0, v5
	s_nop 1
	v_cndmask_b32_e64 v5, v13, v11, s[2:3]
	v_cndmask_b32_e64 v11, 0, -1, vcc
	v_cmp_le_u32_e32 vcc, s18, v14
	s_nop 1
	v_cndmask_b32_e64 v13, 0, -1, vcc
	v_cmp_eq_u32_e32 vcc, s19, v1
	s_nop 1
	v_cndmask_b32_e32 v1, v11, v13, vcc
	v_cmp_ne_u32_e32 vcc, 0, v1
	v_cndmask_b32_e64 v1, v12, v10, s[2:3]
	s_nop 0
	v_cndmask_b32_e32 v9, v9, v5, vcc
	v_cndmask_b32_e32 v8, v8, v1, vcc
.LBB0_4:                                ;   in Loop: Header=BB0_2 Depth=1
	s_andn2_saveexec_b64 s[2:3], s[20:21]
	s_cbranch_execz .LBB0_6
; %bb.5:                                ;   in Loop: Header=BB0_2 Depth=1
	v_cvt_f32_u32_e32 v1, s18
	s_sub_i32 s20, 0, s18
	v_rcp_iflag_f32_e32 v1, v1
	s_nop 0
	v_mul_f32_e32 v1, 0x4f7ffffe, v1
	v_cvt_u32_f32_e32 v1, v1
	v_mul_lo_u32 v5, s20, v1
	v_mul_hi_u32 v5, v1, v5
	v_add_u32_e32 v1, v1, v5
	v_mul_hi_u32 v1, v6, v1
	v_mul_lo_u32 v5, v1, s18
	v_sub_u32_e32 v5, v6, v5
	v_add_u32_e32 v8, 1, v1
	v_subrev_u32_e32 v9, s18, v5
	v_cmp_le_u32_e32 vcc, s18, v5
	s_nop 1
	v_cndmask_b32_e32 v5, v5, v9, vcc
	v_cndmask_b32_e32 v1, v1, v8, vcc
	v_add_u32_e32 v8, 1, v1
	v_cmp_le_u32_e32 vcc, s18, v5
	v_mov_b32_e32 v9, v4
	s_nop 0
	v_cndmask_b32_e32 v8, v1, v8, vcc
.LBB0_6:                                ;   in Loop: Header=BB0_2 Depth=1
	s_or_b64 exec, exec, s[2:3]
	v_mad_u64_u32 v[10:11], s[2:3], v8, s18, 0
	s_load_dwordx2 s[2:3], s[12:13], 0x0
	v_mul_lo_u32 v1, v9, s18
	v_mul_lo_u32 v5, v8, s19
	v_add3_u32 v1, v11, v5, v1
	v_sub_co_u32_e32 v5, vcc, v6, v10
	s_add_u32 s14, s14, 1
	s_nop 0
	v_subb_co_u32_e32 v1, vcc, v7, v1, vcc
	s_addc_u32 s15, s15, 0
	s_waitcnt lgkmcnt(0)
	v_mul_lo_u32 v1, s2, v1
	v_mul_lo_u32 v6, s3, v5
	v_mad_u64_u32 v[2:3], s[2:3], s2, v5, v[2:3]
	s_add_u32 s12, s12, 8
	v_add3_u32 v3, v6, v3, v1
	s_addc_u32 s13, s13, 0
	v_mov_b64_e32 v[6:7], s[6:7]
	s_add_u32 s16, s16, 8
	v_cmp_ge_u64_e32 vcc, s[14:15], v[6:7]
	s_addc_u32 s17, s17, 0
	s_cbranch_vccnz .LBB0_9
; %bb.7:                                ;   in Loop: Header=BB0_2 Depth=1
	v_mov_b64_e32 v[6:7], v[8:9]
	s_branch .LBB0_2
.LBB0_8:
	v_mov_b64_e32 v[8:9], v[6:7]
.LBB0_9:
	s_lshl_b64 s[2:3], s[6:7], 3
	s_add_u32 s2, s10, s2
	s_addc_u32 s3, s11, s3
	s_load_dwordx2 s[6:7], s[2:3], 0x0
	s_load_dwordx2 s[10:11], s[0:1], 0x20
	s_mov_b32 s2, 0x4a7904b
	v_mov_b32_e32 v23, 0
	v_mov_b32_e32 v5, 0
	s_waitcnt lgkmcnt(0)
	v_mul_lo_u32 v1, s6, v9
	v_mul_lo_u32 v4, s7, v8
	v_mad_u64_u32 v[2:3], s[0:1], s6, v8, v[2:3]
	v_add3_u32 v3, v4, v3, v1
	v_mul_hi_u32 v1, v0, s2
	v_mul_u32_u24_e32 v1, 55, v1
	v_cmp_gt_u64_e64 s[0:1], s[10:11], v[8:9]
	v_sub_u32_e32 v16, v0, v1
	v_lshl_add_u64 v[18:19], v[2:3], 2, s[8:9]
	v_mov_b32_e32 v9, 0
	v_mov_b32_e32 v2, 0
	;; [unrolled: 1-line block ×18, first 2 shown]
                                        ; implicit-def: $vgpr28
                                        ; implicit-def: $vgpr32
                                        ; implicit-def: $vgpr8
                                        ; implicit-def: $vgpr61
                                        ; implicit-def: $vgpr15
                                        ; implicit-def: $vgpr62
                                        ; implicit-def: $vgpr14
                                        ; implicit-def: $vgpr21
                                        ; implicit-def: $vgpr66
                                        ; implicit-def: $vgpr22
                                        ; implicit-def: $vgpr67
                                        ; implicit-def: $vgpr71
                                        ; implicit-def: $vgpr20
                                        ; implicit-def: $vgpr25
                                        ; implicit-def: $vgpr10
                                        ; implicit-def: $vgpr12
                                        ; implicit-def: $vgpr6
                                        ; implicit-def: $vgpr7
                                        ; implicit-def: $vgpr3
                                        ; implicit-def: $vgpr4
	s_and_saveexec_b64 s[2:3], s[0:1]
	s_cbranch_execz .LBB0_11
; %bb.10:
	v_mov_b32_e32 v17, 0
	v_lshl_add_u64 v[6:7], v[16:17], 2, v[18:19]
	global_load_dword v3, v[6:7], off offset:3300
	v_add_co_u32_e32 v12, vcc, 0x1000, v6
	s_mov_b32 s6, 0x7060302
	s_nop 0
	v_addc_co_u32_e32 v13, vcc, 0, v7, vcc
	global_load_dword v8, v[12:13], off offset:2724
	global_load_dword v9, v[6:7], off offset:1320
	;; [unrolled: 1-line block ×3, first 2 shown]
	global_load_dword v5, v[6:7], off
	global_load_dword v2, v[6:7], off offset:220
	global_load_dword v1, v[6:7], off offset:440
	;; [unrolled: 1-line block ×30, first 2 shown]
	s_mov_b32 s7, 0x5040100
	s_waitcnt vmcnt(26)
	v_perm_b32 v12, v8, v4, s6
	s_waitcnt vmcnt(20)
	v_lshrrev_b32_e32 v28, 16, v10
	s_waitcnt vmcnt(19)
	v_lshrrev_b32_e32 v32, 16, v36
	s_waitcnt vmcnt(18)
	v_lshrrev_b32_e32 v66, 16, v37
	s_waitcnt vmcnt(17)
	v_lshrrev_b32_e32 v61, 16, v38
	v_perm_b32 v6, v37, v34, s7
	s_waitcnt vmcnt(15)
	v_lshrrev_b32_e32 v62, 16, v14
	s_waitcnt vmcnt(12)
	v_perm_b32 v7, v21, v34, s6
	s_waitcnt vmcnt(10)
	v_perm_b32 v67, v20, v25, s6
	v_perm_b32 v71, v20, v25, s7
	v_perm_b32 v20, v10, v3, s7
	v_perm_b32 v25, v22, v3, s6
	v_perm_b32 v10, v36, v4, s7
	v_perm_b32 v3, v38, v35, s7
	v_perm_b32 v4, v15, v35, s6
.LBB0_11:
	s_or_b64 exec, exec, s[2:3]
	s_mov_b32 s2, 0x5040100
	s_mov_b32 s3, 0x7060302
	s_waitcnt vmcnt(2)
	v_perm_b32 v76, v74, v33, s2
	v_add_f16_e32 v34, v22, v23
	v_perm_b32 v75, v23, v33, s3
	v_pk_add_f16 v33, v20, v76
	v_sub_f16_sdwa v35, v74, v28 dst_sel:DWORD dst_unused:UNUSED_PAD src0_sel:WORD_1 src1_sel:DWORD
	v_pk_add_f16 v36, v75, v25 neg_lo:[0,1] neg_hi:[0,1]
	v_add_f16_sdwa v43, v34, v33 dst_sel:DWORD dst_unused:UNUSED_PAD src0_sel:DWORD src1_sel:WORD_1
	v_sub_f16_e32 v44, v34, v33
	v_alignbit_b32 v34, v34, v33, 16
	v_pk_add_f16 v34, v33, v34 neg_lo:[0,1] neg_hi:[0,1]
	v_add_f16_e32 v45, v35, v36
	v_pack_b32_f16 v46, v35, v36
	s_mov_b32 s9, 0x39e02b26
	s_movk_i32 s6, 0x3a52
	v_pk_add_f16 v46, v36, v46 neg_lo:[0,1] neg_hi:[0,1]
	v_sub_f16_sdwa v35, v35, v36 dst_sel:DWORD dst_unused:UNUSED_PAD src0_sel:DWORD src1_sel:WORD_1
	v_add_f16_sdwa v36, v36, v45 dst_sel:DWORD dst_unused:UNUSED_PAD src0_sel:WORD_1 src1_sel:DWORD
	v_pk_mul_f16 v45, v34, s9
	v_add_f16_e32 v33, v43, v33
	s_mov_b32 s14, 0x3574b846
	v_fma_f16 v48, v44, s6, v45
	v_mul_f16_e32 v44, 0xba52, v44
	s_mov_b32 s7, 0xbcab
	v_add_f16_e32 v43, v33, v5
	v_alignbit_b32 v44, v44, v45, 16
	v_pk_mul_f16 v45, v46, s14
	v_mul_f16_e32 v35, 0x3b00, v35
	s_movk_i32 s8, 0x370e
	v_mul_f16_e32 v47, 0x370e, v36
	v_fma_f16 v33, v33, s7, v43
	v_pk_fma_f16 v34, v34, s9, v44 neg_lo:[1,0,0] neg_hi:[1,0,0]
	v_add_f16_sdwa v44, v45, v45 dst_sel:DWORD dst_unused:UNUSED_PAD src0_sel:WORD_1 src1_sel:DWORD
	v_pk_fma_f16 v35, v46, s14, v35 op_sel_hi:[1,1,0] neg_lo:[1,0,0] neg_hi:[1,0,1]
	v_add_f16_e32 v45, v48, v33
	v_pk_add_f16 v33, v34, v33 op_sel_hi:[1,0]
	v_fma_f16 v44, v36, s8, v44
	v_pk_add_f16 v34, v35, v47 op_sel_hi:[1,0]
	v_add_f16_e32 v46, v45, v44
	v_pk_add_f16 v35, v33, v34
	v_pk_add_f16 v33, v33, v34 neg_lo:[0,1] neg_hi:[0,1]
	s_mov_b32 s10, 0xffff
	v_perm_b32 v78, v68, v31, s2
	v_add_f16_e32 v37, v8, v9
	v_mad_u32_u24 v13, v16, 14, 0
	v_bfi_b32 v36, s10, v35, v33
	v_alignbit_b32 v35, v33, v35, 16
	v_pack_b32_f16 v34, v43, v46
	v_perm_b32 v77, v9, v31, s3
	v_pk_add_f16 v31, v10, v78
	v_sub_f16_sdwa v38, v68, v32 dst_sel:DWORD dst_unused:UNUSED_PAD src0_sel:WORD_1 src1_sel:DWORD
	ds_write_b96 v13, v[34:36]
	v_pk_add_f16 v33, v77, v12 neg_lo:[0,1] neg_hi:[0,1]
	v_alignbit_b32 v36, v37, v31, 16
	v_add_f16_sdwa v34, v37, v31 dst_sel:DWORD dst_unused:UNUSED_PAD src0_sel:DWORD src1_sel:WORD_1
	v_sub_f16_e32 v35, v37, v31
	v_pk_add_f16 v36, v31, v36 neg_lo:[0,1] neg_hi:[0,1]
	v_add_f16_e32 v37, v38, v33
	v_pack_b32_f16 v43, v38, v33
	v_pk_add_f16 v43, v33, v43 neg_lo:[0,1] neg_hi:[0,1]
	v_sub_f16_sdwa v38, v38, v33 dst_sel:DWORD dst_unused:UNUSED_PAD src0_sel:DWORD src1_sel:WORD_1
	v_add_f16_sdwa v33, v33, v37 dst_sel:DWORD dst_unused:UNUSED_PAD src0_sel:WORD_1 src1_sel:DWORD
	v_mul_f16_e32 v37, 0xba52, v35
	v_pk_mul_f16 v46, v36, s9
	v_add_f16_e32 v31, v34, v31
	v_alignbit_b32 v37, v37, v46, 16
	v_add_f16_e32 v34, v31, v2
	v_pk_fma_f16 v36, v36, s9, v37 neg_lo:[1,0,0] neg_hi:[1,0,0]
	v_pk_mul_f16 v37, v43, s14
	v_mul_f16_e32 v38, 0x3b00, v38
	v_fma_f16 v35, v35, s6, v46
	v_mul_f16_e32 v46, 0x370e, v33
	v_fma_f16 v31, v31, s7, v34
	v_add_f16_sdwa v37, v37, v37 dst_sel:DWORD dst_unused:UNUSED_PAD src0_sel:WORD_1 src1_sel:DWORD
	v_pk_fma_f16 v38, v43, s14, v38 op_sel_hi:[1,1,0] neg_lo:[1,0,0] neg_hi:[1,0,1]
	v_add_f16_e32 v43, v35, v31
	v_pk_add_f16 v31, v36, v31 op_sel_hi:[1,0]
	v_fma_f16 v37, v33, s8, v37
	v_pk_add_f16 v33, v38, v46 op_sel_hi:[1,0]
	v_add_f16_e32 v38, v43, v37
	v_pk_add_f16 v35, v31, v33
	v_pk_add_f16 v31, v31, v33 neg_lo:[0,1] neg_hi:[0,1]
	v_perm_b32 v80, v72, v30, s2
	v_add_f16_e32 v39, v21, v11
	v_bfi_b32 v36, s10, v35, v31
	v_alignbit_b32 v35, v31, v35, 16
	v_pack_b32_f16 v34, v34, v38
	v_perm_b32 v79, v11, v30, s3
	v_pk_add_f16 v30, v6, v80
	v_sub_f16_sdwa v40, v72, v66 dst_sel:DWORD dst_unused:UNUSED_PAD src0_sel:WORD_1 src1_sel:DWORD
	ds_write_b96 v13, v[34:36] offset:770
	v_pk_add_f16 v31, v79, v7 neg_lo:[0,1] neg_hi:[0,1]
	v_alignbit_b32 v35, v39, v30, 16
	v_add_f16_sdwa v33, v39, v30 dst_sel:DWORD dst_unused:UNUSED_PAD src0_sel:DWORD src1_sel:WORD_1
	v_sub_f16_e32 v34, v39, v30
	v_pk_add_f16 v35, v30, v35 neg_lo:[0,1] neg_hi:[0,1]
	v_add_f16_e32 v36, v40, v31
	v_pack_b32_f16 v38, v40, v31
	v_pk_add_f16 v38, v31, v38 neg_lo:[0,1] neg_hi:[0,1]
	v_sub_f16_sdwa v39, v40, v31 dst_sel:DWORD dst_unused:UNUSED_PAD src0_sel:DWORD src1_sel:WORD_1
	v_add_f16_e32 v30, v33, v30
	v_add_f16_sdwa v31, v31, v36 dst_sel:DWORD dst_unused:UNUSED_PAD src0_sel:WORD_1 src1_sel:DWORD
	v_mul_f16_e32 v33, 0xba52, v34
	v_pk_mul_f16 v36, v35, s9
	v_add_f16_e32 v40, v30, v1
	v_fma_f16 v34, v34, s6, v36
	v_alignbit_b32 v33, v33, v36, 16
	v_mul_f16_e32 v36, 0x3b00, v39
	v_pk_fma_f16 v33, v35, s9, v33 neg_lo:[1,0,0] neg_hi:[1,0,0]
	v_mul_f16_e32 v35, 0x370e, v31
	v_pk_fma_f16 v36, v38, s14, v36 op_sel_hi:[1,1,0] neg_lo:[1,0,0] neg_hi:[1,0,1]
	v_pk_mul_f16 v38, v38, s14
	v_fma_f16 v30, v30, s7, v40
	v_add_f16_sdwa v38, v38, v38 dst_sel:DWORD dst_unused:UNUSED_PAD src0_sel:WORD_1 src1_sel:DWORD
	v_add_f16_e32 v39, v34, v30
	v_pk_add_f16 v30, v33, v30 op_sel_hi:[1,0]
	v_pk_add_f16 v33, v36, v35 op_sel_hi:[1,0]
	v_fma_f16 v31, v31, s8, v38
	v_pk_add_f16 v34, v30, v33
	v_pk_add_f16 v30, v30, v33 neg_lo:[0,1] neg_hi:[0,1]
	v_perm_b32 v82, v73, v29, s2
	v_bfi_b32 v36, s10, v34, v30
	v_alignbit_b32 v35, v30, v34, 16
	v_add_f16_e32 v30, v39, v31
	v_add_f16_e32 v41, v15, v27
	v_pack_b32_f16 v34, v40, v30
	v_perm_b32 v81, v27, v29, s3
	v_pk_add_f16 v29, v3, v82
	v_sub_f16_sdwa v42, v73, v61 dst_sel:DWORD dst_unused:UNUSED_PAD src0_sel:WORD_1 src1_sel:DWORD
	ds_write_b96 v13, v[34:36] offset:1540
	v_pk_add_f16 v30, v81, v4 neg_lo:[0,1] neg_hi:[0,1]
	v_add_f16_sdwa v33, v41, v29 dst_sel:DWORD dst_unused:UNUSED_PAD src0_sel:DWORD src1_sel:WORD_1
	v_alignbit_b32 v35, v41, v29, 16
	v_sub_f16_e32 v34, v41, v29
	v_pk_add_f16 v35, v29, v35 neg_lo:[0,1] neg_hi:[0,1]
	v_add_f16_e32 v36, v42, v30
	v_add_f16_e32 v29, v33, v29
	v_pack_b32_f16 v33, v42, v30
	v_pk_add_f16 v38, v30, v33 neg_lo:[0,1] neg_hi:[0,1]
	v_sub_f16_sdwa v33, v42, v30 dst_sel:DWORD dst_unused:UNUSED_PAD src0_sel:DWORD src1_sel:WORD_1
	v_add_f16_sdwa v30, v30, v36 dst_sel:DWORD dst_unused:UNUSED_PAD src0_sel:WORD_1 src1_sel:DWORD
	v_mul_f16_e32 v36, 0xba52, v34
	v_pk_mul_f16 v40, v35, s9
	v_mul_f16_e32 v33, 0x3b00, v33
	v_alignbit_b32 v36, v36, v40, 16
	v_add_f16_e32 v41, v29, v0
	v_pk_fma_f16 v35, v35, s9, v36 neg_lo:[1,0,0] neg_hi:[1,0,0]
	v_pk_fma_f16 v33, v38, s14, v33 op_sel_hi:[1,1,0] neg_lo:[1,0,0] neg_hi:[1,0,1]
	v_mul_f16_e32 v36, 0x370e, v30
	v_fma_f16 v29, v29, s7, v41
	v_pk_add_f16 v33, v33, v36 op_sel_hi:[1,0]
	v_pk_add_f16 v35, v35, v29 op_sel_hi:[1,0]
	s_waitcnt vmcnt(1)
	v_perm_b32 v83, v17, v24, s2
	v_pk_add_f16 v42, v35, v33
	v_pk_add_f16 v33, v35, v33 neg_lo:[0,1] neg_hi:[0,1]
	v_perm_b32 v84, v17, v24, s3
	v_pk_add_f16 v17, v71, v83
	v_bfi_b32 v36, s10, v42, v33
	v_alignbit_b32 v35, v33, v42, 16
	s_waitcnt vmcnt(0)
	v_add_f16_e32 v24, v14, v65
	v_add_f16_sdwa v33, v17, v17 dst_sel:DWORD dst_unused:UNUSED_PAD src0_sel:DWORD src1_sel:WORD_1
	v_add_f16_e32 v33, v33, v24
	v_sub_f16_e32 v42, v17, v24
	v_sub_f16_sdwa v24, v24, v17 dst_sel:DWORD dst_unused:UNUSED_PAD src0_sel:DWORD src1_sel:WORD_1
	v_sub_f16_sdwa v17, v17, v17 dst_sel:DWORD dst_unused:UNUSED_PAD src0_sel:WORD_1 src1_sel:DWORD
	v_mul_f16_e32 v24, 0x2b26, v24
	v_mul_f16_e32 v46, 0x3a52, v42
	s_movk_i32 s9, 0x39e0
	s_mov_b32 s10, 0xb9e0
	v_fma_f16 v42, v42, s6, v24
	v_fma_f16 v24, v17, s9, -v24
	v_fma_f16 v17, v17, s10, -v46
	v_pk_add_f16 v46, v84, v67 neg_lo:[0,1] neg_hi:[0,1]
	v_sub_f16_sdwa v47, v65, v62 dst_sel:DWORD dst_unused:UNUSED_PAD src0_sel:WORD_1 src1_sel:DWORD
	v_add_f16_sdwa v48, v46, v47 dst_sel:DWORD dst_unused:UNUSED_PAD src0_sel:WORD_1 src1_sel:DWORD
	v_sub_f16_e32 v31, v39, v31
	v_sub_f16_sdwa v49, v47, v46 dst_sel:DWORD dst_unused:UNUSED_PAD src0_sel:DWORD src1_sel:WORD_1
	v_sub_f16_e32 v47, v46, v47
	v_add_f16_e32 v48, v46, v48
	v_sub_f16_sdwa v46, v46, v46 dst_sel:DWORD dst_unused:UNUSED_PAD src0_sel:WORD_1 src1_sel:DWORD
	ds_write_b16 v13, v31 offset:1552
	v_fma_f16 v31, v34, s6, v40
	v_mul_f16_e32 v49, 0xb846, v49
	s_movk_i32 s11, 0x3b00
	s_movk_i32 s12, 0x3574
	v_mul_f16_e32 v50, 0x3b00, v46
	s_mov_b32 s13, 0xb574
	v_add_f16_e32 v29, v31, v29
	v_pk_mul_f16 v31, v38, s14
	v_fma_f16 v46, v46, s11, -v49
	v_fma_f16 v49, v47, s12, v49
	v_fma_f16 v47, v47, s13, -v50
	v_add_f16_e32 v50, v33, v26
	v_add_f16_sdwa v31, v31, v31 dst_sel:DWORD dst_unused:UNUSED_PAD src0_sel:WORD_1 src1_sel:DWORD
	v_fma_f16 v33, v33, s7, v50
	v_fma_f16 v30, v30, s8, v31
	v_add_f16_e32 v42, v42, v33
	v_add_f16_e32 v24, v24, v33
	;; [unrolled: 1-line block ×3, first 2 shown]
	v_fma_f16 v33, v48, s8, v49
	v_fma_f16 v46, v48, s8, v46
	;; [unrolled: 1-line block ×3, first 2 shown]
	v_add_f16_e32 v31, v29, v30
	v_sub_f16_e32 v48, v24, v46
	v_add_f16_e32 v46, v24, v46
	v_add_f16_e32 v49, v17, v47
	v_sub_f16_e32 v24, v17, v47
	v_add_f16_e32 v17, v42, v33
	v_sub_f16_e32 v33, v42, v33
	v_sub_f16_e32 v42, v45, v44
	;; [unrolled: 1-line block ×3, first 2 shown]
	v_pack_b32_f16 v34, v41, v31
	ds_write_b16 v13, v42 offset:12
	ds_write_b16 v13, v37 offset:782
	v_sub_f16_e32 v29, v29, v30
	ds_write_b96 v13, v[34:36] offset:2310
	ds_write_b16 v13, v29 offset:2322
	v_pack_b32_f16 v36, v46, v24
	v_pack_b32_f16 v35, v49, v48
	;; [unrolled: 1-line block ×3, first 2 shown]
	v_lshl_add_u32 v17, v16, 1, 0
	ds_write_b96 v13, v[34:36] offset:3080
	ds_write_b16 v13, v33 offset:3092
	s_waitcnt lgkmcnt(0)
	; wave barrier
	s_waitcnt lgkmcnt(0)
	ds_read_u16 v31, v17
	ds_read_u16 v29, v17 offset:110
	ds_read_u16 v45, v17 offset:1860
	;; [unrolled: 1-line block ×32, first 2 shown]
	v_cmp_gt_u32_e32 vcc, 10, v16
                                        ; implicit-def: $vgpr100
                                        ; implicit-def: $vgpr99
                                        ; implicit-def: $vgpr95
                                        ; implicit-def: $vgpr90
                                        ; implicit-def: $vgpr91
                                        ; implicit-def: $vgpr92
                                        ; implicit-def: $vgpr70
                                        ; implicit-def: $vgpr89
                                        ; implicit-def: $vgpr96
	s_and_saveexec_b64 s[2:3], vcc
	s_cbranch_execz .LBB0_13
; %bb.12:
	ds_read_u16 v24, v17 offset:330
	ds_read_u16 v33, v17 offset:680
	;; [unrolled: 1-line block ×11, first 2 shown]
.LBB0_13:
	s_or_b64 exec, exec, s[2:3]
	v_sub_f16_e32 v8, v9, v8
	v_add_f16_sdwa v9, v32, v68 dst_sel:DWORD dst_unused:UNUSED_PAD src0_sel:DWORD src1_sel:WORD_1
	v_pk_add_f16 v32, v67, v84
	v_sub_f16_e32 v22, v23, v22
	v_sub_f16_e32 v15, v27, v15
	v_add_f16_sdwa v27, v61, v73 dst_sel:DWORD dst_unused:UNUSED_PAD src0_sel:DWORD src1_sel:WORD_1
	v_pk_add_f16 v23, v83, v71 neg_lo:[0,1] neg_hi:[0,1]
	v_add_f16_sdwa v61, v62, v65 dst_sel:DWORD dst_unused:UNUSED_PAD src0_sel:DWORD src1_sel:WORD_1
	v_sub_f16_e32 v14, v65, v14
	v_add_f16_sdwa v62, v32, v32 dst_sel:DWORD dst_unused:UNUSED_PAD src0_sel:DWORD src1_sel:WORD_1
	v_sub_f16_e32 v11, v11, v21
	v_add_f16_sdwa v21, v66, v72 dst_sel:DWORD dst_unused:UNUSED_PAD src0_sel:DWORD src1_sel:WORD_1
	v_sub_f16_sdwa v65, v32, v32 dst_sel:DWORD dst_unused:UNUSED_PAD src0_sel:WORD_1 src1_sel:DWORD
	v_sub_f16_e32 v66, v32, v61
	v_sub_f16_sdwa v32, v61, v32 dst_sel:DWORD dst_unused:UNUSED_PAD src0_sel:DWORD src1_sel:WORD_1
	v_add_f16_sdwa v67, v23, v14 dst_sel:DWORD dst_unused:UNUSED_PAD src0_sel:WORD_1 src1_sel:DWORD
	v_sub_f16_sdwa v68, v14, v23 dst_sel:DWORD dst_unused:UNUSED_PAD src0_sel:DWORD src1_sel:WORD_1
	v_sub_f16_sdwa v71, v23, v23 dst_sel:DWORD dst_unused:UNUSED_PAD src0_sel:WORD_1 src1_sel:DWORD
	v_add_f16_e32 v61, v62, v61
	v_sub_f16_e32 v14, v23, v14
	v_add_f16_e32 v23, v23, v67
	v_add_f16_sdwa v26, v61, v26 dst_sel:DWORD dst_unused:UNUSED_PAD src0_sel:DWORD src1_sel:WORD_1
	v_mul_f16_e32 v62, 0x3a52, v66
	v_mul_f16_e32 v32, 0x2b26, v32
	;; [unrolled: 1-line block ×4, first 2 shown]
	v_fma_f16 v61, v61, s7, v26
	v_fma_f16 v66, v66, s6, v32
	v_fma_f16 v32, v65, s9, -v32
	v_fma_f16 v62, v65, s10, -v62
	v_fma_f16 v65, v14, s12, v67
	v_fma_f16 v14, v14, s13, -v68
	v_fma_f16 v67, v71, s11, -v67
	v_add_f16_e32 v66, v66, v61
	v_add_f16_e32 v32, v32, v61
	;; [unrolled: 1-line block ×3, first 2 shown]
	v_fma_f16 v14, v23, s8, v14
	v_add_f16_sdwa v28, v28, v74 dst_sel:DWORD dst_unused:UNUSED_PAD src0_sel:DWORD src1_sel:WORD_1
	v_fma_f16 v62, v23, s8, v65
	v_fma_f16 v65, v23, s8, v67
	v_sub_f16_e32 v68, v61, v14
	v_add_f16_e32 v23, v14, v61
	v_pk_add_f16 v14, v25, v75
	v_pk_add_f16 v20, v76, v20 neg_lo:[0,1] neg_hi:[0,1]
	v_add_f16_sdwa v25, v14, v28 dst_sel:DWORD dst_unused:UNUSED_PAD src0_sel:WORD_1 src1_sel:DWORD
	v_sub_f16_e32 v67, v66, v62
	v_add_f16_e32 v71, v65, v32
	v_sub_f16_e32 v32, v32, v65
	v_add_f16_e32 v103, v62, v66
	v_sub_f16_sdwa v61, v28, v14 dst_sel:DWORD dst_unused:UNUSED_PAD src0_sel:DWORD src1_sel:WORD_1
	v_sub_f16_sdwa v62, v14, v14 dst_sel:DWORD dst_unused:UNUSED_PAD src0_sel:WORD_1 src1_sel:DWORD
	v_sub_f16_e32 v28, v14, v28
	v_add_f16_sdwa v65, v20, v20 dst_sel:DWORD dst_unused:UNUSED_PAD src0_sel:WORD_1 src1_sel:DWORD
	v_sub_f16_sdwa v66, v20, v20 dst_sel:DWORD dst_unused:UNUSED_PAD src0_sel:DWORD src1_sel:WORD_1
	v_sub_f16_e32 v72, v22, v20
	v_sub_f16_sdwa v20, v20, v22 dst_sel:DWORD dst_unused:UNUSED_PAD src0_sel:WORD_1 src1_sel:DWORD
	v_add_f16_e32 v14, v25, v14
	v_add_f16_e32 v22, v22, v65
	v_add_f16_sdwa v5, v14, v5 dst_sel:DWORD dst_unused:UNUSED_PAD src0_sel:DWORD src1_sel:WORD_1
	v_mul_f16_e32 v25, 0x3a52, v62
	v_mul_f16_e32 v28, 0x2b26, v28
	;; [unrolled: 1-line block ×4, first 2 shown]
	v_fma_f16 v14, v14, s7, v5
	v_fma_f16 v62, v62, s6, v28
	v_fma_f16 v28, v61, s9, -v28
	v_fma_f16 v25, v61, s10, -v25
	v_fma_f16 v61, v72, s12, v65
	v_fma_f16 v20, v20, s11, -v65
	v_fma_f16 v65, v72, s13, -v66
	v_add_f16_e32 v62, v62, v14
	v_add_f16_e32 v28, v28, v14
	;; [unrolled: 1-line block ×3, first 2 shown]
	v_fma_f16 v25, v22, s8, v61
	v_fma_f16 v20, v22, s8, v20
	;; [unrolled: 1-line block ×3, first 2 shown]
	v_pk_add_f16 v12, v12, v77
	v_sub_f16_e32 v61, v62, v25
	v_sub_f16_e32 v65, v14, v22
	v_add_f16_e32 v14, v22, v14
	v_add_f16_e32 v22, v25, v62
	v_pk_add_f16 v10, v78, v10 neg_lo:[0,1] neg_hi:[0,1]
	v_add_f16_sdwa v25, v12, v9 dst_sel:DWORD dst_unused:UNUSED_PAD src0_sel:WORD_1 src1_sel:DWORD
	v_add_f16_e32 v66, v20, v28
	v_sub_f16_e32 v20, v28, v20
	v_sub_f16_sdwa v28, v9, v12 dst_sel:DWORD dst_unused:UNUSED_PAD src0_sel:DWORD src1_sel:WORD_1
	v_sub_f16_sdwa v62, v12, v12 dst_sel:DWORD dst_unused:UNUSED_PAD src0_sel:WORD_1 src1_sel:DWORD
	v_sub_f16_e32 v9, v12, v9
	v_add_f16_sdwa v72, v10, v10 dst_sel:DWORD dst_unused:UNUSED_PAD src0_sel:WORD_1 src1_sel:DWORD
	v_sub_f16_sdwa v73, v10, v10 dst_sel:DWORD dst_unused:UNUSED_PAD src0_sel:DWORD src1_sel:WORD_1
	v_sub_f16_e32 v74, v8, v10
	v_sub_f16_sdwa v10, v10, v8 dst_sel:DWORD dst_unused:UNUSED_PAD src0_sel:WORD_1 src1_sel:DWORD
	v_add_f16_e32 v12, v25, v12
	v_add_f16_e32 v8, v8, v72
	v_add_f16_sdwa v25, v12, v2 dst_sel:DWORD dst_unused:UNUSED_PAD src0_sel:DWORD src1_sel:WORD_1
	v_mul_f16_e32 v2, 0x3a52, v62
	v_mul_f16_e32 v9, 0x2b26, v9
	v_mul_f16_e32 v72, 0xb846, v73
	v_mul_f16_e32 v73, 0x3b00, v10
	v_fma_f16 v12, v12, s7, v25
	v_fma_f16 v62, v62, s6, v9
	v_fma_f16 v9, v28, s9, -v9
	v_fma_f16 v2, v28, s10, -v2
	v_fma_f16 v28, v74, s12, v72
	v_fma_f16 v10, v10, s11, -v72
	v_fma_f16 v72, v74, s13, -v73
	v_add_f16_e32 v62, v62, v12
	v_add_f16_e32 v9, v9, v12
	;; [unrolled: 1-line block ×3, first 2 shown]
	v_fma_f16 v12, v8, s8, v28
	v_fma_f16 v10, v8, s8, v10
	;; [unrolled: 1-line block ×3, first 2 shown]
	v_sub_f16_e32 v72, v2, v8
	v_add_f16_e32 v8, v8, v2
	v_pk_add_f16 v2, v7, v79
	v_pk_add_f16 v6, v80, v6 neg_lo:[0,1] neg_hi:[0,1]
	v_add_f16_sdwa v7, v2, v21 dst_sel:DWORD dst_unused:UNUSED_PAD src0_sel:WORD_1 src1_sel:DWORD
	v_sub_f16_e32 v28, v62, v12
	v_add_f16_e32 v73, v10, v9
	v_sub_f16_e32 v9, v9, v10
	v_add_f16_e32 v10, v12, v62
	v_sub_f16_sdwa v12, v21, v2 dst_sel:DWORD dst_unused:UNUSED_PAD src0_sel:DWORD src1_sel:WORD_1
	v_sub_f16_sdwa v62, v2, v2 dst_sel:DWORD dst_unused:UNUSED_PAD src0_sel:WORD_1 src1_sel:DWORD
	v_sub_f16_e32 v21, v2, v21
	v_add_f16_sdwa v74, v6, v6 dst_sel:DWORD dst_unused:UNUSED_PAD src0_sel:WORD_1 src1_sel:DWORD
	v_sub_f16_sdwa v75, v6, v6 dst_sel:DWORD dst_unused:UNUSED_PAD src0_sel:DWORD src1_sel:WORD_1
	v_sub_f16_e32 v76, v11, v6
	v_sub_f16_sdwa v6, v6, v11 dst_sel:DWORD dst_unused:UNUSED_PAD src0_sel:WORD_1 src1_sel:DWORD
	v_add_f16_e32 v2, v7, v2
	v_add_f16_e32 v7, v11, v74
	v_add_f16_sdwa v11, v2, v1 dst_sel:DWORD dst_unused:UNUSED_PAD src0_sel:DWORD src1_sel:WORD_1
	v_mul_f16_e32 v1, 0x3a52, v62
	v_mul_f16_e32 v21, 0x2b26, v21
	;; [unrolled: 1-line block ×4, first 2 shown]
	v_fma_f16 v2, v2, s7, v11
	v_fma_f16 v62, v62, s6, v21
	v_fma_f16 v21, v12, s9, -v21
	v_fma_f16 v1, v12, s10, -v1
	v_fma_f16 v12, v76, s12, v74
	v_fma_f16 v6, v6, s11, -v74
	v_fma_f16 v74, v76, s13, -v75
	v_add_f16_e32 v62, v62, v2
	v_add_f16_e32 v21, v21, v2
	;; [unrolled: 1-line block ×3, first 2 shown]
	v_fma_f16 v2, v7, s8, v12
	v_fma_f16 v6, v7, s8, v6
	;; [unrolled: 1-line block ×3, first 2 shown]
	v_sub_f16_e32 v74, v1, v7
	v_add_f16_e32 v7, v7, v1
	v_pk_add_f16 v1, v4, v81
	v_sub_f16_e32 v12, v62, v2
	v_add_f16_e32 v75, v6, v21
	v_sub_f16_e32 v6, v21, v6
	v_add_f16_e32 v21, v2, v62
	v_pk_add_f16 v2, v82, v3 neg_lo:[0,1] neg_hi:[0,1]
	v_add_f16_sdwa v3, v1, v27 dst_sel:DWORD dst_unused:UNUSED_PAD src0_sel:WORD_1 src1_sel:DWORD
	v_sub_f16_sdwa v4, v27, v1 dst_sel:DWORD dst_unused:UNUSED_PAD src0_sel:DWORD src1_sel:WORD_1
	v_sub_f16_sdwa v62, v1, v1 dst_sel:DWORD dst_unused:UNUSED_PAD src0_sel:WORD_1 src1_sel:DWORD
	v_sub_f16_e32 v27, v1, v27
	v_add_f16_sdwa v76, v2, v2 dst_sel:DWORD dst_unused:UNUSED_PAD src0_sel:WORD_1 src1_sel:DWORD
	v_sub_f16_sdwa v77, v2, v2 dst_sel:DWORD dst_unused:UNUSED_PAD src0_sel:DWORD src1_sel:WORD_1
	v_sub_f16_e32 v78, v15, v2
	v_sub_f16_sdwa v2, v2, v15 dst_sel:DWORD dst_unused:UNUSED_PAD src0_sel:WORD_1 src1_sel:DWORD
	v_add_f16_e32 v1, v3, v1
	v_add_f16_e32 v3, v15, v76
	v_add_f16_sdwa v15, v1, v0 dst_sel:DWORD dst_unused:UNUSED_PAD src0_sel:DWORD src1_sel:WORD_1
	v_mul_f16_e32 v0, 0x3a52, v62
	v_mul_f16_e32 v27, 0x2b26, v27
	;; [unrolled: 1-line block ×4, first 2 shown]
	v_fma_f16 v1, v1, s7, v15
	v_fma_f16 v62, v62, s6, v27
	v_fma_f16 v27, v4, s9, -v27
	v_fma_f16 v0, v4, s10, -v0
	v_fma_f16 v4, v78, s12, v76
	v_fma_f16 v2, v2, s11, -v76
	v_fma_f16 v76, v78, s13, -v77
	v_add_f16_e32 v62, v62, v1
	v_add_f16_e32 v27, v27, v1
	;; [unrolled: 1-line block ×3, first 2 shown]
	v_fma_f16 v1, v3, s8, v4
	v_fma_f16 v2, v3, s8, v2
	;; [unrolled: 1-line block ×3, first 2 shown]
	v_sub_f16_e32 v4, v62, v1
	v_sub_f16_e32 v76, v0, v3
	v_add_f16_e32 v77, v2, v27
	v_sub_f16_e32 v27, v27, v2
	v_add_f16_e32 v3, v3, v0
	v_add_f16_e32 v62, v1, v62
	v_pack_b32_f16 v2, v20, v14
	v_pack_b32_f16 v1, v65, v66
	v_pack_b32_f16 v0, v5, v61
	s_waitcnt lgkmcnt(0)
	; wave barrier
	s_waitcnt lgkmcnt(0)
	ds_write_b96 v13, v[0:2]
	ds_write_b16 v13, v22 offset:12
	v_pack_b32_f16 v2, v9, v8
	v_pack_b32_f16 v1, v72, v73
	v_pack_b32_f16 v0, v25, v28
	ds_write_b96 v13, v[0:2] offset:770
	ds_write_b16 v13, v10 offset:782
	v_pack_b32_f16 v2, v6, v7
	v_pack_b32_f16 v1, v74, v75
	v_pack_b32_f16 v0, v11, v12
	ds_write_b96 v13, v[0:2] offset:1540
	;; [unrolled: 5-line block ×4, first 2 shown]
	ds_write_b16 v13, v103 offset:3092
	s_waitcnt lgkmcnt(0)
	; wave barrier
	s_waitcnt lgkmcnt(0)
	ds_read_u16 v32, v17
	ds_read_u16 v28, v17 offset:110
	ds_read_u16 v66, v17 offset:460
	;; [unrolled: 1-line block ×32, first 2 shown]
                                        ; implicit-def: $vgpr120
                                        ; implicit-def: $vgpr118
                                        ; implicit-def: $vgpr116
                                        ; implicit-def: $vgpr114
                                        ; implicit-def: $vgpr109
                                        ; implicit-def: $vgpr110
                                        ; implicit-def: $vgpr112
                                        ; implicit-def: $vgpr113
                                        ; implicit-def: $vgpr117
	s_and_saveexec_b64 s[2:3], vcc
	s_cbranch_execz .LBB0_15
; %bb.14:
	ds_read_u16 v23, v17 offset:330
	ds_read_u16 v103, v17 offset:680
	;; [unrolled: 1-line block ×11, first 2 shown]
.LBB0_15:
	s_or_b64 exec, exec, s[2:3]
	v_mov_b32_e32 v26, 37
	v_mul_lo_u16_sdwa v0, v16, v26 dst_sel:DWORD dst_unused:UNUSED_PAD src0_sel:BYTE_0 src1_sel:DWORD
	v_sub_u16_sdwa v1, v16, v0 dst_sel:DWORD dst_unused:UNUSED_PAD src0_sel:DWORD src1_sel:BYTE_1
	v_add_u32_e32 v20, 55, v16
	v_lshrrev_b16_e32 v1, 1, v1
	v_mul_lo_u16_sdwa v4, v20, v26 dst_sel:DWORD dst_unused:UNUSED_PAD src0_sel:BYTE_0 src1_sel:DWORD
	v_and_b32_e32 v1, 0x7f, v1
	v_sub_u16_sdwa v5, v20, v4 dst_sel:DWORD dst_unused:UNUSED_PAD src0_sel:DWORD src1_sel:BYTE_1
	v_add_u16_sdwa v0, v1, v0 dst_sel:DWORD dst_unused:UNUSED_PAD src0_sel:DWORD src1_sel:BYTE_1
	v_lshrrev_b16_e32 v5, 1, v5
	v_lshrrev_b16_e32 v71, 2, v0
	v_and_b32_e32 v5, 0x7f, v5
	v_mul_lo_u16_e32 v0, 7, v71
	v_add_u16_sdwa v4, v5, v4 dst_sel:DWORD dst_unused:UNUSED_PAD src0_sel:DWORD src1_sel:BYTE_1
	v_sub_u16_e32 v72, v16, v0
	v_mov_b32_e32 v81, 10
	v_lshrrev_b16_e32 v79, 2, v4
	v_mul_u32_u24_sdwa v0, v72, v81 dst_sel:DWORD dst_unused:UNUSED_PAD src0_sel:BYTE_0 src1_sel:DWORD
	v_mul_lo_u16_e32 v4, 7, v79
	v_lshlrev_b32_e32 v82, 2, v0
	v_sub_u16_e32 v80, v20, v4
	global_load_dwordx4 v[0:3], v82, s[4:5]
	global_load_dwordx4 v[8:11], v82, s[4:5] offset:16
	v_mul_u32_u24_sdwa v4, v80, v81 dst_sel:DWORD dst_unused:UNUSED_PAD src0_sel:BYTE_0 src1_sel:DWORD
	v_lshlrev_b32_e32 v148, 2, v4
	global_load_dwordx4 v[4:7], v148, s[4:5]
	global_load_dwordx4 v[12:15], v148, s[4:5] offset:16
	v_add_u32_e32 v21, 0x6e, v16
	v_mul_lo_u16_sdwa v27, v21, v26 dst_sel:DWORD dst_unused:UNUSED_PAD src0_sel:BYTE_0 src1_sel:DWORD
	v_sub_u16_sdwa v83, v21, v27 dst_sel:DWORD dst_unused:UNUSED_PAD src0_sel:DWORD src1_sel:BYTE_1
	v_lshrrev_b16_e32 v83, 1, v83
	v_and_b32_e32 v83, 0x7f, v83
	v_add_u16_sdwa v27, v83, v27 dst_sel:DWORD dst_unused:UNUSED_PAD src0_sel:DWORD src1_sel:BYTE_1
	v_lshrrev_b16_e32 v101, 2, v27
	v_mul_lo_u16_e32 v27, 7, v101
	v_sub_u16_e32 v102, v21, v27
	v_mul_u32_u24_sdwa v27, v102, v81 dst_sel:DWORD dst_unused:UNUSED_PAD src0_sel:BYTE_0 src1_sel:DWORD
	v_lshlrev_b32_e32 v150, 2, v27
	global_load_dwordx4 v[130:133], v150, s[4:5]
	v_add_u32_e32 v22, 0xa5, v16
	v_mul_lo_u16_sdwa v26, v22, v26 dst_sel:DWORD dst_unused:UNUSED_PAD src0_sel:BYTE_0 src1_sel:DWORD
	v_sub_u16_sdwa v27, v22, v26 dst_sel:DWORD dst_unused:UNUSED_PAD src0_sel:DWORD src1_sel:BYTE_1
	v_lshrrev_b16_e32 v27, 1, v27
	v_and_b32_e32 v27, 0x7f, v27
	v_add_u16_sdwa v26, v27, v26 dst_sel:DWORD dst_unused:UNUSED_PAD src0_sel:DWORD src1_sel:BYTE_1
	v_lshrrev_b16_e32 v26, 2, v26
	v_mul_lo_u16_e32 v27, 7, v26
	v_sub_u16_e32 v27, v22, v27
	v_mul_u32_u24_sdwa v81, v27, v81 dst_sel:DWORD dst_unused:UNUSED_PAD src0_sel:BYTE_0 src1_sel:DWORD
	v_lshlrev_b32_e32 v151, 2, v81
	global_load_dwordx4 v[134:137], v150, s[4:5] offset:16
	global_load_dwordx4 v[138:141], v151, s[4:5]
	global_load_dwordx4 v[142:145], v151, s[4:5] offset:16
	global_load_dwordx2 v[146:147], v82, s[4:5] offset:32
	s_movk_i32 s7, 0x3abb
	s_movk_i32 s6, 0x36a6
	s_mov_b32 s8, 0xb08e
	s_mov_b32 s9, 0xb93d
	;; [unrolled: 1-line block ×3, first 2 shown]
	v_mul_u32_u24_e32 v71, 0x9a, v71
	s_waitcnt vmcnt(8) lgkmcnt(14)
	v_mul_f16_sdwa v81, v75, v0 dst_sel:DWORD dst_unused:UNUSED_PAD src0_sel:DWORD src1_sel:WORD_1
	v_mul_f16_sdwa v82, v57, v0 dst_sel:DWORD dst_unused:UNUSED_PAD src0_sel:DWORD src1_sel:WORD_1
	;; [unrolled: 1-line block ×3, first 2 shown]
	s_waitcnt vmcnt(7)
	v_mul_f16_sdwa v159, v47, v11 dst_sel:DWORD dst_unused:UNUSED_PAD src0_sel:DWORD src1_sel:WORD_1
	s_waitcnt vmcnt(6)
	v_mul_f16_sdwa v163, v46, v5 dst_sel:DWORD dst_unused:UNUSED_PAD src0_sel:DWORD src1_sel:WORD_1
	v_fma_f16 v97, v57, v0, -v81
	v_fma_f16 v98, v75, v0, v82
	v_mul_f16_sdwa v0, v62, v6 dst_sel:DWORD dst_unused:UNUSED_PAD src0_sel:DWORD src1_sel:WORD_1
	v_mul_f16_sdwa v158, v68, v11 dst_sel:DWORD dst_unused:UNUSED_PAD src0_sel:DWORD src1_sel:WORD_1
	;; [unrolled: 1-line block ×3, first 2 shown]
	v_fma_f16 v81, v56, v3, -v88
	v_fma_f16 v88, v68, v11, v159
	v_fma_f16 v68, v61, v5, v163
	v_fma_f16 v61, v53, v6, -v0
	v_mul_f16_sdwa v0, v53, v6 dst_sel:DWORD dst_unused:UNUSED_PAD src0_sel:DWORD src1_sel:WORD_1
	v_fma_f16 v62, v62, v6, v0
	v_mul_f16_sdwa v0, v128, v7 dst_sel:DWORD dst_unused:UNUSED_PAD src0_sel:DWORD src1_sel:WORD_1
	v_mul_f16_sdwa v83, v74, v1 dst_sel:DWORD dst_unused:UNUSED_PAD src0_sel:DWORD src1_sel:WORD_1
	s_waitcnt lgkmcnt(8)
	v_mul_f16_sdwa v156, v84, v10 dst_sel:DWORD dst_unused:UNUSED_PAD src0_sel:DWORD src1_sel:WORD_1
	v_fma_f16 v57, v50, v7, -v0
	v_mul_f16_sdwa v0, v50, v7 dst_sel:DWORD dst_unused:UNUSED_PAD src0_sel:DWORD src1_sel:WORD_1
	v_mul_f16_sdwa v157, v58, v10 dst_sel:DWORD dst_unused:UNUSED_PAD src0_sel:DWORD src1_sel:WORD_1
	v_fma_f16 v93, v55, v1, -v83
	v_fma_f16 v83, v58, v10, -v156
	v_fma_f16 v58, v128, v7, v0
	s_waitcnt vmcnt(5)
	v_mul_f16_sdwa v0, v127, v12 dst_sel:DWORD dst_unused:UNUSED_PAD src0_sel:DWORD src1_sel:WORD_1
	v_mul_f16_sdwa v152, v73, v8 dst_sel:DWORD dst_unused:UNUSED_PAD src0_sel:DWORD src1_sel:WORD_1
	v_fma_f16 v53, v45, v12, -v0
	v_mul_f16_sdwa v0, v45, v12 dst_sel:DWORD dst_unused:UNUSED_PAD src0_sel:DWORD src1_sel:WORD_1
	v_mul_f16_sdwa v153, v54, v8 dst_sel:DWORD dst_unused:UNUSED_PAD src0_sel:DWORD src1_sel:WORD_1
	v_fma_f16 v75, v54, v8, -v152
	v_fma_f16 v54, v127, v12, v0
	v_mul_f16_sdwa v0, v65, v13 dst_sel:DWORD dst_unused:UNUSED_PAD src0_sel:DWORD src1_sel:WORD_1
	v_mul_f16_sdwa v85, v55, v1 dst_sel:DWORD dst_unused:UNUSED_PAD src0_sel:DWORD src1_sel:WORD_1
	;; [unrolled: 1-line block ×3, first 2 shown]
	v_fma_f16 v55, v51, v13, -v0
	v_mul_f16_sdwa v0, v51, v13 dst_sel:DWORD dst_unused:UNUSED_PAD src0_sel:DWORD src1_sel:WORD_1
	v_mul_f16_sdwa v86, v77, v2 dst_sel:DWORD dst_unused:UNUSED_PAD src0_sel:DWORD src1_sel:WORD_1
	v_fma_f16 v82, v76, v3, v149
	global_load_dwordx2 v[148:149], v148, s[4:5] offset:32
	v_fma_f16 v56, v65, v13, v0
	v_mul_f16_sdwa v0, v129, v14 dst_sel:DWORD dst_unused:UNUSED_PAD src0_sel:DWORD src1_sel:WORD_1
	v_mul_f16_sdwa v87, v59, v2 dst_sel:DWORD dst_unused:UNUSED_PAD src0_sel:DWORD src1_sel:WORD_1
	s_waitcnt lgkmcnt(6)
	v_mul_f16_sdwa v154, v78, v9 dst_sel:DWORD dst_unused:UNUSED_PAD src0_sel:DWORD src1_sel:WORD_1
	v_fma_f16 v94, v74, v1, v85
	v_fma_f16 v85, v59, v2, -v86
	v_fma_f16 v59, v48, v14, -v0
	v_mul_f16_sdwa v0, v48, v14 dst_sel:DWORD dst_unused:UNUSED_PAD src0_sel:DWORD src1_sel:WORD_1
	v_mul_f16_sdwa v155, v60, v9 dst_sel:DWORD dst_unused:UNUSED_PAD src0_sel:DWORD src1_sel:WORD_1
	v_fma_f16 v86, v77, v2, v87
	v_fma_f16 v77, v60, v9, -v154
	v_fma_f16 v60, v129, v14, v0
	global_load_dwordx2 v[128:129], v150, s[4:5] offset:32
	v_mul_f16_sdwa v0, v67, v15 dst_sel:DWORD dst_unused:UNUSED_PAD src0_sel:DWORD src1_sel:WORD_1
	v_fma_f16 v65, v41, v15, -v0
	v_mul_f16_sdwa v0, v41, v15 dst_sel:DWORD dst_unused:UNUSED_PAD src0_sel:DWORD src1_sel:WORD_1
	v_fma_f16 v67, v67, v15, v0
	s_waitcnt vmcnt(6)
	v_mul_f16_sdwa v0, v124, v130 dst_sel:DWORD dst_unused:UNUSED_PAD src0_sel:DWORD src1_sel:WORD_1
	v_mul_f16_sdwa v160, v66, v4 dst_sel:DWORD dst_unused:UNUSED_PAD src0_sel:DWORD src1_sel:WORD_1
	v_fma_f16 v51, v39, v130, -v0
	v_mul_f16_sdwa v0, v39, v130 dst_sel:DWORD dst_unused:UNUSED_PAD src0_sel:DWORD src1_sel:WORD_1
	v_mul_f16_sdwa v161, v52, v4 dst_sel:DWORD dst_unused:UNUSED_PAD src0_sel:DWORD src1_sel:WORD_1
	v_fma_f16 v76, v73, v8, v153
	v_fma_f16 v73, v52, v4, -v160
	v_fma_f16 v52, v124, v130, v0
	v_mul_f16_sdwa v0, v126, v131 dst_sel:DWORD dst_unused:UNUSED_PAD src0_sel:DWORD src1_sel:WORD_1
	v_fma_f16 v48, v42, v131, -v0
	v_mul_f16_sdwa v0, v42, v131 dst_sel:DWORD dst_unused:UNUSED_PAD src0_sel:DWORD src1_sel:WORD_1
	v_fma_f16 v50, v126, v131, v0
	global_load_dwordx2 v[126:127], v151, s[4:5] offset:32
	v_mul_f16_sdwa v0, v123, v132 dst_sel:DWORD dst_unused:UNUSED_PAD src0_sel:DWORD src1_sel:WORD_1
	v_fma_f16 v45, v38, v132, -v0
	v_mul_f16_sdwa v0, v38, v132 dst_sel:DWORD dst_unused:UNUSED_PAD src0_sel:DWORD src1_sel:WORD_1
	v_fma_f16 v74, v66, v4, v161
	v_fma_f16 v66, v46, v5, -v162
	v_fma_f16 v46, v123, v132, v0
	v_mul_f16_sdwa v0, v119, v133 dst_sel:DWORD dst_unused:UNUSED_PAD src0_sel:DWORD src1_sel:WORD_1
	v_fma_f16 v41, v37, v133, -v0
	v_mul_f16_sdwa v0, v37, v133 dst_sel:DWORD dst_unused:UNUSED_PAD src0_sel:DWORD src1_sel:WORD_1
	v_fma_f16 v42, v119, v133, v0
	s_waitcnt vmcnt(6) lgkmcnt(5)
	v_mul_f16_sdwa v0, v125, v134 dst_sel:DWORD dst_unused:UNUSED_PAD src0_sel:DWORD src1_sel:WORD_1
	v_fma_f16 v37, v43, v134, -v0
	v_mul_f16_sdwa v0, v43, v134 dst_sel:DWORD dst_unused:UNUSED_PAD src0_sel:DWORD src1_sel:WORD_1
	v_fma_f16 v38, v125, v134, v0
	v_mul_f16_sdwa v0, v122, v135 dst_sel:DWORD dst_unused:UNUSED_PAD src0_sel:DWORD src1_sel:WORD_1
	v_fma_f16 v39, v40, v135, -v0
	v_mul_f16_sdwa v0, v40, v135 dst_sel:DWORD dst_unused:UNUSED_PAD src0_sel:DWORD src1_sel:WORD_1
	v_fma_f16 v40, v122, v135, v0
	;; [unrolled: 4-line block ×3, first 2 shown]
	s_waitcnt lgkmcnt(1)
	v_mul_f16_sdwa v0, v121, v137 dst_sel:DWORD dst_unused:UNUSED_PAD src0_sel:DWORD src1_sel:WORD_1
	v_fma_f16 v87, v47, v11, -v158
	v_fma_f16 v47, v49, v137, -v0
	v_mul_f16_sdwa v0, v49, v137 dst_sel:DWORD dst_unused:UNUSED_PAD src0_sel:DWORD src1_sel:WORD_1
	v_fma_f16 v49, v121, v137, v0
	s_waitcnt vmcnt(5)
	v_mul_f16_sdwa v0, v103, v138 dst_sel:DWORD dst_unused:UNUSED_PAD src0_sel:DWORD src1_sel:WORD_1
	v_fma_f16 v14, v33, v138, -v0
	v_mul_f16_sdwa v0, v33, v138 dst_sel:DWORD dst_unused:UNUSED_PAD src0_sel:DWORD src1_sel:WORD_1
	v_fma_f16 v15, v103, v138, v0
	v_mul_f16_sdwa v0, v120, v139 dst_sel:DWORD dst_unused:UNUSED_PAD src0_sel:DWORD src1_sel:WORD_1
	v_fma_f16 v11, v100, v139, -v0
	v_mul_f16_sdwa v0, v100, v139 dst_sel:DWORD dst_unused:UNUSED_PAD src0_sel:DWORD src1_sel:WORD_1
	v_fma_f16 v13, v120, v139, v0
	v_mul_f16_sdwa v0, v118, v140 dst_sel:DWORD dst_unused:UNUSED_PAD src0_sel:DWORD src1_sel:WORD_1
	s_waitcnt vmcnt(3)
	v_mul_f16_sdwa v33, v111, v146 dst_sel:DWORD dst_unused:UNUSED_PAD src0_sel:DWORD src1_sel:WORD_1
	v_fma_f16 v8, v99, v140, -v0
	v_mul_f16_sdwa v0, v99, v140 dst_sel:DWORD dst_unused:UNUSED_PAD src0_sel:DWORD src1_sel:WORD_1
	v_fma_f16 v99, v69, v146, -v33
	v_mul_f16_sdwa v33, v69, v146 dst_sel:DWORD dst_unused:UNUSED_PAD src0_sel:DWORD src1_sel:WORD_1
	v_fma_f16 v100, v111, v146, v33
	v_mul_f16_sdwa v33, v104, v147 dst_sel:DWORD dst_unused:UNUSED_PAD src0_sel:DWORD src1_sel:WORD_1
	v_fma_f16 v78, v78, v9, v155
	v_fma_f16 v9, v118, v140, v0
	v_mul_f16_sdwa v0, v116, v141 dst_sel:DWORD dst_unused:UNUSED_PAD src0_sel:DWORD src1_sel:WORD_1
	v_fma_f16 v103, v64, v147, -v33
	v_mul_f16_sdwa v33, v64, v147 dst_sel:DWORD dst_unused:UNUSED_PAD src0_sel:DWORD src1_sel:WORD_1
	v_fma_f16 v4, v95, v141, -v0
	v_mul_f16_sdwa v0, v95, v141 dst_sel:DWORD dst_unused:UNUSED_PAD src0_sel:DWORD src1_sel:WORD_1
	v_mul_f16_sdwa v6, v113, v144 dst_sel:DWORD dst_unused:UNUSED_PAD src0_sel:DWORD src1_sel:WORD_1
	v_fma_f16 v104, v104, v147, v33
	s_waitcnt vmcnt(2)
	v_mul_f16_sdwa v33, v106, v148 dst_sel:DWORD dst_unused:UNUSED_PAD src0_sel:DWORD src1_sel:WORD_1
	v_fma_f16 v5, v116, v141, v0
	v_mul_f16_sdwa v0, v114, v142 dst_sel:DWORD dst_unused:UNUSED_PAD src0_sel:DWORD src1_sel:WORD_1
	v_fma_f16 v6, v89, v144, -v6
	v_mul_f16_sdwa v7, v89, v144 dst_sel:DWORD dst_unused:UNUSED_PAD src0_sel:DWORD src1_sel:WORD_1
	v_fma_f16 v89, v63, v148, -v33
	v_mul_f16_sdwa v33, v63, v148 dst_sel:DWORD dst_unused:UNUSED_PAD src0_sel:DWORD src1_sel:WORD_1
	v_fma_f16 v0, v90, v142, -v0
	v_mul_f16_sdwa v1, v90, v142 dst_sel:DWORD dst_unused:UNUSED_PAD src0_sel:DWORD src1_sel:WORD_1
	v_fma_f16 v90, v106, v148, v33
	v_mul_f16_sdwa v33, v105, v149 dst_sel:DWORD dst_unused:UNUSED_PAD src0_sel:DWORD src1_sel:WORD_1
	v_mul_f16_sdwa v2, v117, v143 dst_sel:DWORD dst_unused:UNUSED_PAD src0_sel:DWORD src1_sel:WORD_1
	v_fma_f16 v95, v36, v149, -v33
	v_mul_f16_sdwa v33, v36, v149 dst_sel:DWORD dst_unused:UNUSED_PAD src0_sel:DWORD src1_sel:WORD_1
	v_fma_f16 v2, v96, v143, -v2
	v_mul_f16_sdwa v3, v96, v143 dst_sel:DWORD dst_unused:UNUSED_PAD src0_sel:DWORD src1_sel:WORD_1
	v_fma_f16 v96, v105, v149, v33
	s_waitcnt vmcnt(1)
	v_mul_f16_sdwa v33, v108, v128 dst_sel:DWORD dst_unused:UNUSED_PAD src0_sel:DWORD src1_sel:WORD_1
	v_fma_f16 v63, v34, v128, -v33
	v_mul_f16_sdwa v33, v34, v128 dst_sel:DWORD dst_unused:UNUSED_PAD src0_sel:DWORD src1_sel:WORD_1
	v_fma_f16 v64, v108, v128, v33
	s_waitcnt lgkmcnt(0)
	v_mul_f16_sdwa v33, v107, v129 dst_sel:DWORD dst_unused:UNUSED_PAD src0_sel:DWORD src1_sel:WORD_1
	v_fma_f16 v84, v84, v10, v157
	v_mul_f16_sdwa v10, v112, v145 dst_sel:DWORD dst_unused:UNUSED_PAD src0_sel:DWORD src1_sel:WORD_1
	v_fma_f16 v69, v35, v129, -v33
	v_mul_f16_sdwa v33, v35, v129 dst_sel:DWORD dst_unused:UNUSED_PAD src0_sel:DWORD src1_sel:WORD_1
	v_fma_f16 v10, v70, v145, -v10
	v_mul_f16_sdwa v12, v70, v145 dst_sel:DWORD dst_unused:UNUSED_PAD src0_sel:DWORD src1_sel:WORD_1
	v_fma_f16 v70, v107, v129, v33
	s_waitcnt vmcnt(0)
	v_mul_f16_sdwa v33, v110, v126 dst_sel:DWORD dst_unused:UNUSED_PAD src0_sel:DWORD src1_sel:WORD_1
	v_fma_f16 v33, v92, v126, -v33
	v_mul_f16_sdwa v34, v92, v126 dst_sel:DWORD dst_unused:UNUSED_PAD src0_sel:DWORD src1_sel:WORD_1
	v_mul_f16_sdwa v35, v109, v127 dst_sel:DWORD dst_unused:UNUSED_PAD src0_sel:DWORD src1_sel:WORD_1
	v_sub_f16_e32 v92, v98, v104
	v_fma_f16 v35, v91, v127, -v35
	v_mul_f16_sdwa v36, v91, v127 dst_sel:DWORD dst_unused:UNUSED_PAD src0_sel:DWORD src1_sel:WORD_1
	v_add_f16_e32 v91, v97, v103
	v_mul_f16_e32 v105, 0xb853, v92
	v_fma_f16 v1, v114, v142, v1
	v_fma_f16 v36, v109, v127, v36
	v_fma_f16 v106, v91, s7, -v105
	v_mul_f16_e32 v107, 0xbb47, v92
	v_mul_f16_e32 v109, 0xbbeb, v92
	;; [unrolled: 1-line block ×4, first 2 shown]
	v_sub_f16_e32 v114, v94, v100
	v_fma_f16 v7, v113, v144, v7
	v_fma_f16 v12, v112, v145, v12
	;; [unrolled: 1-line block ×4, first 2 shown]
	v_fma_f16 v108, v91, s6, -v107
	v_fma_f16 v107, v91, s6, v107
	v_fma_f16 v110, v91, s8, -v109
	v_fma_f16 v109, v91, s8, v109
	;; [unrolled: 2-line block ×4, first 2 shown]
	v_add_f16_e32 v92, v31, v106
	v_add_f16_e32 v106, v93, v99
	v_mul_f16_e32 v115, 0xbb47, v114
	v_fma_f16 v116, v106, s6, -v115
	v_add_f16_e32 v105, v31, v105
	v_fma_f16 v115, v106, s6, v115
	v_add_f16_e32 v105, v115, v105
	v_mul_f16_e32 v115, 0xba0c, v114
	v_add_f16_e32 v92, v116, v92
	v_fma_f16 v116, v106, s9, -v115
	v_add_f16_e32 v107, v31, v107
	v_fma_f16 v115, v106, s9, v115
	v_add_f16_e32 v108, v31, v108
	v_add_f16_e32 v107, v115, v107
	v_mul_f16_e32 v115, 0x3482, v114
	v_add_f16_e32 v108, v116, v108
	v_fma_f16 v116, v106, s10, -v115
	v_add_f16_e32 v109, v31, v109
	v_fma_f16 v115, v106, s10, v115
	v_add_f16_e32 v110, v31, v110
	v_add_f16_e32 v109, v115, v109
	v_mul_f16_e32 v115, 0x3beb, v114
	v_add_f16_e32 v110, v116, v110
	v_fma_f16 v116, v106, s8, -v115
	v_add_f16_e32 v111, v31, v111
	v_fma_f16 v115, v106, s8, v115
	v_mul_f16_e32 v114, 0x3853, v114
	v_add_f16_e32 v111, v115, v111
	v_add_f16_e32 v113, v31, v113
	v_fma_f16 v115, v106, s7, -v114
	v_fma_f16 v106, v106, s7, v114
	v_add_f16_e32 v91, v31, v91
	v_sub_f16_e32 v114, v86, v88
	v_add_f16_e32 v112, v31, v112
	v_add_f16_e32 v113, v115, v113
	;; [unrolled: 1-line block ×4, first 2 shown]
	v_mul_f16_e32 v115, 0xbbeb, v114
	v_add_f16_e32 v112, v116, v112
	v_fma_f16 v116, v106, s8, -v115
	v_fma_f16 v115, v106, s8, v115
	v_add_f16_e32 v105, v115, v105
	v_mul_f16_e32 v115, 0x3482, v114
	v_add_f16_e32 v92, v116, v92
	v_fma_f16 v116, v106, s10, -v115
	v_fma_f16 v115, v106, s10, v115
	v_add_f16_e32 v107, v115, v107
	v_mul_f16_e32 v115, 0x3b47, v114
	v_add_f16_e32 v108, v116, v108
	v_fma_f16 v116, v106, s6, -v115
	v_fma_f16 v115, v106, s6, v115
	v_add_f16_e32 v109, v115, v109
	v_mul_f16_e32 v115, 0xb853, v114
	v_add_f16_e32 v110, v116, v110
	v_fma_f16 v116, v106, s7, -v115
	v_fma_f16 v115, v106, s7, v115
	v_mul_f16_e32 v114, 0xba0c, v114
	v_add_f16_e32 v111, v115, v111
	v_fma_f16 v115, v106, s9, -v114
	v_fma_f16 v106, v106, s9, v114
	v_sub_f16_e32 v114, v82, v84
	v_add_f16_e32 v113, v115, v113
	v_add_f16_e32 v91, v106, v91
	v_add_f16_e32 v106, v81, v83
	v_mul_f16_e32 v115, 0xba0c, v114
	v_add_f16_e32 v112, v116, v112
	v_fma_f16 v116, v106, s9, -v115
	v_fma_f16 v115, v106, s9, v115
	v_add_f16_e32 v105, v115, v105
	v_mul_f16_e32 v115, 0x3beb, v114
	v_add_f16_e32 v92, v116, v92
	v_fma_f16 v116, v106, s8, -v115
	v_fma_f16 v115, v106, s8, v115
	v_add_f16_e32 v107, v115, v107
	v_mul_f16_e32 v115, 0xb853, v114
	v_add_f16_e32 v108, v116, v108
	v_fma_f16 v116, v106, s7, -v115
	v_fma_f16 v115, v106, s7, v115
	v_add_f16_e32 v109, v115, v109
	v_mul_f16_e32 v115, 0xb482, v114
	v_add_f16_e32 v110, v116, v110
	v_fma_f16 v116, v106, s10, -v115
	v_fma_f16 v115, v106, s10, v115
	v_mul_f16_e32 v114, 0x3b47, v114
	v_add_f16_e32 v111, v115, v111
	v_fma_f16 v115, v106, s6, -v114
	v_fma_f16 v106, v106, s6, v114
	v_sub_f16_e32 v114, v76, v78
	v_add_f16_e32 v113, v115, v113
	v_add_f16_e32 v91, v106, v91
	v_add_f16_e32 v106, v75, v77
	;; [unrolled: 27-line block ×3, first 2 shown]
	v_mul_f16_e32 v115, 0xb853, v114
	v_fma_f16 v3, v117, v143, v3
	v_add_f16_e32 v112, v116, v112
	v_fma_f16 v116, v91, s7, -v115
	v_mul_f16_e32 v117, 0xbb47, v114
	v_mul_f16_e32 v119, 0xbbeb, v114
	;; [unrolled: 1-line block ×4, first 2 shown]
	v_sub_f16_e32 v124, v68, v90
	v_fma_f16 v115, v91, s7, v115
	v_fma_f16 v118, v91, s6, -v117
	v_fma_f16 v117, v91, s6, v117
	v_fma_f16 v120, v91, s8, -v119
	;; [unrolled: 2-line block ×4, first 2 shown]
	v_fma_f16 v91, v91, s10, v114
	v_add_f16_e32 v114, v29, v116
	v_add_f16_e32 v116, v66, v89
	v_mul_f16_e32 v125, 0xbb47, v124
	v_fma_f16 v126, v116, s6, -v125
	v_add_f16_e32 v115, v29, v115
	v_fma_f16 v125, v116, s6, v125
	v_add_f16_e32 v115, v125, v115
	v_mul_f16_e32 v125, 0xba0c, v124
	v_add_f16_e32 v114, v126, v114
	v_fma_f16 v126, v116, s9, -v125
	v_add_f16_e32 v117, v29, v117
	v_fma_f16 v125, v116, s9, v125
	v_add_f16_e32 v118, v29, v118
	v_add_f16_e32 v117, v125, v117
	v_mul_f16_e32 v125, 0x3482, v124
	v_add_f16_e32 v118, v126, v118
	v_fma_f16 v126, v116, s10, -v125
	v_add_f16_e32 v119, v29, v119
	v_fma_f16 v125, v116, s10, v125
	v_add_f16_e32 v120, v29, v120
	v_add_f16_e32 v119, v125, v119
	v_mul_f16_e32 v125, 0x3beb, v124
	v_add_f16_e32 v120, v126, v120
	v_fma_f16 v126, v116, s8, -v125
	v_add_f16_e32 v121, v29, v121
	v_fma_f16 v125, v116, s8, v125
	v_mul_f16_e32 v124, 0x3853, v124
	v_add_f16_e32 v121, v125, v121
	v_add_f16_e32 v123, v29, v123
	v_fma_f16 v125, v116, s7, -v124
	v_fma_f16 v116, v116, s7, v124
	v_add_f16_e32 v91, v29, v91
	v_sub_f16_e32 v124, v62, v67
	v_add_f16_e32 v122, v29, v122
	v_add_f16_e32 v123, v125, v123
	;; [unrolled: 1-line block ×4, first 2 shown]
	v_mul_f16_e32 v125, 0xbbeb, v124
	v_add_f16_e32 v122, v126, v122
	v_fma_f16 v126, v116, s8, -v125
	v_fma_f16 v125, v116, s8, v125
	v_add_f16_e32 v115, v125, v115
	v_mul_f16_e32 v125, 0x3482, v124
	v_add_f16_e32 v114, v126, v114
	v_fma_f16 v126, v116, s10, -v125
	v_fma_f16 v125, v116, s10, v125
	v_add_f16_e32 v117, v125, v117
	v_mul_f16_e32 v125, 0x3b47, v124
	v_add_f16_e32 v118, v126, v118
	v_fma_f16 v126, v116, s6, -v125
	v_fma_f16 v125, v116, s6, v125
	v_add_f16_e32 v119, v125, v119
	v_mul_f16_e32 v125, 0xb853, v124
	v_add_f16_e32 v120, v126, v120
	v_fma_f16 v126, v116, s7, -v125
	v_fma_f16 v125, v116, s7, v125
	v_mul_f16_e32 v124, 0xba0c, v124
	v_add_f16_e32 v121, v125, v121
	v_fma_f16 v125, v116, s9, -v124
	v_fma_f16 v116, v116, s9, v124
	v_sub_f16_e32 v124, v58, v60
	v_add_f16_e32 v123, v125, v123
	v_add_f16_e32 v91, v116, v91
	v_add_f16_e32 v116, v57, v59
	v_mul_f16_e32 v125, 0xba0c, v124
	v_add_f16_e32 v122, v126, v122
	v_fma_f16 v126, v116, s9, -v125
	v_fma_f16 v125, v116, s9, v125
	v_add_f16_e32 v115, v125, v115
	v_mul_f16_e32 v125, 0x3beb, v124
	v_add_f16_e32 v114, v126, v114
	v_fma_f16 v126, v116, s8, -v125
	v_fma_f16 v125, v116, s8, v125
	v_add_f16_e32 v117, v125, v117
	v_mul_f16_e32 v125, 0xb853, v124
	v_add_f16_e32 v118, v126, v118
	v_fma_f16 v126, v116, s7, -v125
	v_fma_f16 v125, v116, s7, v125
	v_add_f16_e32 v119, v125, v119
	v_mul_f16_e32 v125, 0xb482, v124
	v_add_f16_e32 v120, v126, v120
	v_fma_f16 v126, v116, s10, -v125
	v_fma_f16 v125, v116, s10, v125
	v_mul_f16_e32 v124, 0x3b47, v124
	v_add_f16_e32 v121, v125, v121
	v_fma_f16 v125, v116, s6, -v124
	v_fma_f16 v116, v116, s6, v124
	v_sub_f16_e32 v124, v54, v56
	v_add_f16_e32 v123, v125, v123
	v_add_f16_e32 v91, v116, v91
	v_add_f16_e32 v116, v53, v55
	;; [unrolled: 27-line block ×3, first 2 shown]
	v_mul_f16_e32 v125, 0xb853, v124
	v_add_f16_e32 v122, v126, v122
	v_fma_f16 v126, v91, s7, -v125
	v_mul_f16_e32 v127, 0xbb47, v124
	v_mul_f16_e32 v129, 0xbbeb, v124
	;; [unrolled: 1-line block ×4, first 2 shown]
	v_sub_f16_e32 v134, v50, v64
	v_fma_f16 v125, v91, s7, v125
	v_fma_f16 v128, v91, s6, -v127
	v_fma_f16 v127, v91, s6, v127
	v_fma_f16 v130, v91, s8, -v129
	;; [unrolled: 2-line block ×4, first 2 shown]
	v_fma_f16 v91, v91, s10, v124
	v_add_f16_e32 v124, v30, v126
	v_add_f16_e32 v126, v48, v63
	v_mul_f16_e32 v135, 0xbb47, v134
	v_fma_f16 v136, v126, s6, -v135
	v_add_f16_e32 v125, v30, v125
	v_fma_f16 v135, v126, s6, v135
	v_add_f16_e32 v125, v135, v125
	v_mul_f16_e32 v135, 0xba0c, v134
	v_add_f16_e32 v124, v136, v124
	v_fma_f16 v136, v126, s9, -v135
	v_add_f16_e32 v127, v30, v127
	v_fma_f16 v135, v126, s9, v135
	v_add_f16_e32 v128, v30, v128
	v_add_f16_e32 v127, v135, v127
	v_mul_f16_e32 v135, 0x3482, v134
	v_add_f16_e32 v128, v136, v128
	v_fma_f16 v136, v126, s10, -v135
	v_add_f16_e32 v129, v30, v129
	v_fma_f16 v135, v126, s10, v135
	v_add_f16_e32 v130, v30, v130
	v_add_f16_e32 v129, v135, v129
	v_mul_f16_e32 v135, 0x3beb, v134
	v_add_f16_e32 v130, v136, v130
	v_fma_f16 v136, v126, s8, -v135
	v_add_f16_e32 v131, v30, v131
	v_fma_f16 v135, v126, s8, v135
	v_mul_f16_e32 v134, 0x3853, v134
	v_add_f16_e32 v131, v135, v131
	v_add_f16_e32 v133, v30, v133
	v_fma_f16 v135, v126, s7, -v134
	v_fma_f16 v126, v126, s7, v134
	v_add_f16_e32 v91, v30, v91
	v_sub_f16_e32 v134, v46, v49
	v_add_f16_e32 v132, v30, v132
	v_add_f16_e32 v133, v135, v133
	;; [unrolled: 1-line block ×4, first 2 shown]
	v_mul_f16_e32 v135, 0xbbeb, v134
	v_add_f16_e32 v132, v136, v132
	v_fma_f16 v136, v126, s8, -v135
	v_fma_f16 v135, v126, s8, v135
	v_add_f16_e32 v125, v135, v125
	v_mul_f16_e32 v135, 0x3482, v134
	v_add_f16_e32 v124, v136, v124
	v_fma_f16 v136, v126, s10, -v135
	v_fma_f16 v135, v126, s10, v135
	v_add_f16_e32 v127, v135, v127
	;; [unrolled: 5-line block ×3, first 2 shown]
	v_mul_f16_e32 v135, 0xb853, v134
	v_add_f16_e32 v130, v136, v130
	v_fma_f16 v136, v126, s7, -v135
	v_fma_f16 v135, v126, s7, v135
	v_mul_f16_e32 v134, 0xba0c, v134
	v_add_f16_e32 v131, v135, v131
	v_fma_f16 v135, v126, s9, -v134
	v_fma_f16 v126, v126, s9, v134
	v_sub_f16_e32 v134, v42, v44
	v_add_f16_e32 v133, v135, v133
	v_add_f16_e32 v91, v126, v91
	;; [unrolled: 1-line block ×3, first 2 shown]
	v_mul_f16_e32 v135, 0xba0c, v134
	v_add_f16_e32 v132, v136, v132
	v_fma_f16 v136, v126, s9, -v135
	v_fma_f16 v135, v126, s9, v135
	v_add_f16_e32 v125, v135, v125
	v_mul_f16_e32 v135, 0x3beb, v134
	v_add_f16_e32 v124, v136, v124
	v_fma_f16 v136, v126, s8, -v135
	v_fma_f16 v135, v126, s8, v135
	v_add_f16_e32 v127, v135, v127
	;; [unrolled: 5-line block ×3, first 2 shown]
	v_mul_f16_e32 v135, 0xb482, v134
	v_add_f16_e32 v130, v136, v130
	v_fma_f16 v136, v126, s10, -v135
	v_fma_f16 v135, v126, s10, v135
	v_mul_f16_e32 v134, 0x3b47, v134
	v_add_f16_e32 v131, v135, v131
	v_fma_f16 v135, v126, s6, -v134
	v_fma_f16 v126, v126, s6, v134
	v_sub_f16_e32 v134, v38, v40
	v_add_f16_e32 v133, v135, v133
	v_add_f16_e32 v91, v126, v91
	;; [unrolled: 1-line block ×3, first 2 shown]
	v_mul_f16_e32 v135, 0xb482, v134
	v_add_f16_e32 v132, v136, v132
	v_fma_f16 v136, v126, s10, -v135
	v_fma_f16 v135, v126, s10, v135
	v_add_f16_e32 v125, v135, v125
	v_mul_f16_e32 v135, 0x3853, v134
	v_add_f16_e32 v31, v31, v97
	v_add_f16_e32 v124, v136, v124
	v_fma_f16 v136, v126, s7, -v135
	v_fma_f16 v135, v126, s7, v135
	v_add_f16_e32 v31, v31, v93
	v_add_f16_e32 v127, v135, v127
	v_mul_f16_e32 v135, 0xba0c, v134
	v_add_f16_e32 v31, v31, v85
	v_add_f16_e32 v29, v29, v73
	;; [unrolled: 1-line block ×3, first 2 shown]
	v_fma_f16 v136, v126, s9, -v135
	v_fma_f16 v135, v126, s9, v135
	v_add_f16_e32 v31, v31, v81
	v_add_f16_e32 v29, v29, v66
	;; [unrolled: 1-line block ×3, first 2 shown]
	v_mul_f16_e32 v135, 0x3b47, v134
	v_add_f16_e32 v31, v31, v75
	v_add_f16_e32 v29, v29, v61
	;; [unrolled: 1-line block ×3, first 2 shown]
	v_fma_f16 v136, v126, s6, -v135
	v_fma_f16 v135, v126, s6, v135
	v_mul_f16_e32 v134, 0xbbeb, v134
	v_add_f16_e32 v31, v31, v77
	v_add_f16_e32 v29, v29, v57
	;; [unrolled: 1-line block ×3, first 2 shown]
	v_fma_f16 v135, v126, s8, -v134
	v_fma_f16 v126, v126, s8, v134
	v_add_f16_e32 v31, v31, v83
	v_add_f16_e32 v29, v29, v53
	;; [unrolled: 1-line block ×3, first 2 shown]
	v_mov_b32_e32 v91, 1
	v_add_f16_e32 v31, v31, v87
	v_add_f16_e32 v29, v29, v55
	v_lshlrev_b32_sdwa v72, v91, v72 dst_sel:DWORD dst_unused:UNUSED_PAD src0_sel:DWORD src1_sel:BYTE_0
	v_add_f16_e32 v31, v31, v99
	v_add_f16_e32 v29, v29, v59
	v_add3_u32 v71, 0, v71, v72
	v_add_f16_e32 v31, v31, v103
	v_add_f16_e32 v29, v29, v65
	s_waitcnt lgkmcnt(0)
	; wave barrier
	ds_write_b16 v71, v31
	ds_write_b16 v71, v92 offset:14
	ds_write_b16 v71, v108 offset:28
	ds_write_b16 v71, v110 offset:42
	ds_write_b16 v71, v112 offset:56
	ds_write_b16 v71, v113 offset:70
	ds_write_b16 v71, v106 offset:84
	ds_write_b16 v71, v111 offset:98
	ds_write_b16 v71, v109 offset:112
	ds_write_b16 v71, v107 offset:126
	ds_write_b16 v71, v105 offset:140
	v_mul_u32_u24_e32 v31, 0x9a, v79
	v_lshlrev_b32_sdwa v72, v91, v80 dst_sel:DWORD dst_unused:UNUSED_PAD src0_sel:DWORD src1_sel:BYTE_0
	v_add_f16_e32 v29, v29, v89
	v_add3_u32 v31, 0, v31, v72
	v_add_f16_e32 v29, v29, v95
	ds_write_b16 v31, v29
	ds_write_b16 v31, v114 offset:14
	ds_write_b16 v31, v118 offset:28
	;; [unrolled: 1-line block ×10, first 2 shown]
	v_mul_u32_u24_e32 v29, 0x9a, v101
	v_lshlrev_b32_sdwa v72, v91, v102 dst_sel:DWORD dst_unused:UNUSED_PAD src0_sel:DWORD src1_sel:BYTE_0
	v_add3_u32 v72, 0, v29, v72
	v_add_f16_e32 v29, v30, v51
	v_add_f16_e32 v29, v29, v48
	;; [unrolled: 1-line block ×12, first 2 shown]
	ds_write_b16 v72, v29
	ds_write_b16 v72, v124 offset:14
	ds_write_b16 v72, v128 offset:28
	;; [unrolled: 1-line block ×10, first 2 shown]
	s_and_saveexec_b64 s[2:3], vcc
	s_cbranch_execz .LBB0_17
; %bb.16:
	v_sub_f16_e32 v79, v15, v36
	v_add_f16_e32 v30, v14, v35
	v_mul_f16_e32 v80, 0xb482, v79
	v_sub_f16_e32 v102, v13, v34
	v_fma_f16 v92, v30, s10, v80
	v_add_f16_e32 v101, v11, v33
	v_mul_f16_e32 v105, 0x3853, v102
	v_add_f16_e32 v92, v24, v92
	v_fma_f16 v106, v101, s7, v105
	v_sub_f16_e32 v107, v9, v12
	v_add_f16_e32 v92, v106, v92
	v_add_f16_e32 v106, v8, v10
	v_mul_f16_e32 v108, 0xba0c, v107
	v_fma_f16 v109, v106, s9, v108
	v_sub_f16_e32 v110, v5, v7
	v_fma_f16 v80, v30, s10, -v80
	v_add_f16_e32 v92, v109, v92
	v_add_f16_e32 v109, v4, v6
	v_mul_f16_e32 v111, 0x3b47, v110
	v_add_f16_e32 v80, v24, v80
	v_fma_f16 v105, v101, s7, -v105
	v_fma_f16 v112, v109, s6, v111
	v_sub_f16_e32 v113, v1, v3
	v_add_f16_e32 v80, v105, v80
	v_fma_f16 v105, v106, s9, -v108
	v_add_f16_e32 v92, v112, v92
	v_add_f16_e32 v112, v0, v2
	v_mul_f16_e32 v114, 0xbbeb, v113
	v_add_f16_e32 v80, v105, v80
	v_fma_f16 v105, v109, s6, -v111
	v_add_f16_e32 v80, v105, v80
	v_fma_f16 v105, v112, s8, -v114
	v_add_f16_e32 v80, v105, v80
	v_mul_f16_e32 v105, 0xba0c, v79
	v_fma_f16 v108, v30, s9, v105
	v_mul_f16_e32 v111, 0x3beb, v102
	v_fma_f16 v115, v112, s8, v114
	v_add_f16_e32 v108, v24, v108
	v_fma_f16 v114, v101, s8, v111
	v_add_f16_e32 v108, v114, v108
	v_mul_f16_e32 v114, 0xb853, v107
	v_add_f16_e32 v92, v115, v92
	v_fma_f16 v115, v106, s7, v114
	v_fma_f16 v105, v30, s9, -v105
	v_add_f16_e32 v108, v115, v108
	v_mul_f16_e32 v115, 0xb482, v110
	v_add_f16_e32 v105, v24, v105
	v_fma_f16 v111, v101, s8, -v111
	v_fma_f16 v116, v109, s10, v115
	v_add_f16_e32 v105, v111, v105
	v_fma_f16 v111, v106, s7, -v114
	v_add_f16_e32 v108, v116, v108
	v_mul_f16_e32 v116, 0x3b47, v113
	v_add_f16_e32 v105, v111, v105
	v_fma_f16 v111, v109, s10, -v115
	v_add_f16_e32 v105, v111, v105
	v_fma_f16 v111, v112, s6, -v116
	v_add_f16_e32 v105, v111, v105
	v_mul_f16_e32 v111, 0xbbeb, v79
	v_fma_f16 v114, v30, s8, v111
	v_mul_f16_e32 v115, 0x3482, v102
	v_fma_f16 v117, v112, s6, v116
	v_add_f16_e32 v114, v24, v114
	v_fma_f16 v116, v101, s10, v115
	v_add_f16_e32 v114, v116, v114
	v_mul_f16_e32 v116, 0x3b47, v107
	v_add_f16_e32 v108, v117, v108
	v_fma_f16 v117, v106, s6, v116
	v_fma_f16 v111, v30, s8, -v111
	v_add_f16_e32 v114, v117, v114
	v_mul_f16_e32 v117, 0xb853, v110
	v_add_f16_e32 v111, v24, v111
	v_fma_f16 v115, v101, s10, -v115
	v_fma_f16 v118, v109, s7, v117
	v_add_f16_e32 v111, v115, v111
	v_fma_f16 v115, v106, s6, -v116
	v_add_f16_e32 v114, v118, v114
	v_mul_f16_e32 v118, 0xba0c, v113
	v_add_f16_e32 v111, v115, v111
	v_fma_f16 v115, v109, s7, -v117
	v_add_f16_e32 v111, v115, v111
	v_fma_f16 v115, v112, s9, -v118
	v_add_f16_e32 v111, v115, v111
	v_mul_f16_e32 v115, 0xbb47, v79
	v_fma_f16 v116, v30, s6, v115
	v_mul_f16_e32 v117, 0xba0c, v102
	v_fma_f16 v119, v112, s9, v118
	v_add_f16_e32 v116, v24, v116
	v_fma_f16 v118, v101, s9, v117
	v_add_f16_e32 v116, v118, v116
	v_mul_f16_e32 v118, 0x3482, v107
	v_add_f16_e32 v114, v119, v114
	v_fma_f16 v119, v106, s10, v118
	v_fma_f16 v115, v30, s6, -v115
	v_add_f16_e32 v116, v119, v116
	v_mul_f16_e32 v119, 0x3beb, v110
	v_add_f16_e32 v115, v24, v115
	v_fma_f16 v117, v101, s9, -v117
	v_add_f16_e32 v29, v24, v14
	v_fma_f16 v120, v109, s8, v119
	v_add_f16_e32 v115, v117, v115
	v_fma_f16 v117, v106, s10, -v118
	v_add_f16_e32 v29, v29, v11
	v_add_f16_e32 v116, v120, v116
	v_mul_f16_e32 v120, 0x3853, v113
	v_add_f16_e32 v115, v117, v115
	v_fma_f16 v117, v109, s8, -v119
	v_add_f16_e32 v29, v29, v8
	v_add_f16_e32 v115, v117, v115
	v_fma_f16 v117, v112, s7, -v120
	v_mul_f16_e32 v79, 0xb853, v79
	v_add_f16_e32 v29, v29, v4
	v_add_f16_e32 v115, v117, v115
	v_fma_f16 v117, v30, s7, v79
	v_mul_f16_e32 v102, 0xbb47, v102
	v_fma_f16 v30, v30, s7, -v79
	v_add_f16_e32 v29, v29, v0
	v_add_f16_e32 v117, v24, v117
	v_mul_f16_e32 v107, 0xbbeb, v107
	v_add_f16_e32 v24, v24, v30
	v_fma_f16 v30, v101, s6, -v102
	v_add_f16_e32 v29, v29, v2
	v_mul_f16_e32 v110, 0xba0c, v110
	v_add_f16_e32 v24, v30, v24
	v_fma_f16 v30, v106, s8, -v107
	v_add_f16_e32 v29, v29, v6
	v_fma_f16 v118, v101, s6, v102
	v_mul_f16_e32 v113, 0xb482, v113
	v_add_f16_e32 v24, v30, v24
	v_fma_f16 v30, v109, s9, -v110
	v_add_f16_e32 v29, v29, v10
	v_add_f16_e32 v117, v118, v117
	v_fma_f16 v118, v106, s8, v107
	v_add_f16_e32 v24, v30, v24
	v_fma_f16 v30, v112, s10, -v113
	v_add_f16_e32 v29, v29, v33
	v_add_f16_e32 v117, v118, v117
	v_fma_f16 v118, v109, s9, v110
	v_add_f16_e32 v24, v30, v24
	v_mul_u32_u24_e32 v30, 0x9a, v26
	v_lshlrev_b32_sdwa v79, v91, v27 dst_sel:DWORD dst_unused:UNUSED_PAD src0_sel:DWORD src1_sel:BYTE_0
	v_add_f16_e32 v29, v29, v35
	v_fma_f16 v121, v112, s7, v120
	v_add_f16_e32 v117, v118, v117
	v_fma_f16 v118, v112, s10, v113
	v_add3_u32 v30, 0, v30, v79
	v_add_f16_e32 v116, v121, v116
	v_add_f16_e32 v117, v118, v117
	ds_write_b16 v30, v29
	ds_write_b16 v30, v24 offset:14
	ds_write_b16 v30, v115 offset:28
	;; [unrolled: 1-line block ×10, first 2 shown]
.LBB0_17:
	s_or_b64 exec, exec, s[2:3]
	v_add_f16_e32 v24, v32, v98
	v_add_f16_e32 v24, v24, v94
	;; [unrolled: 1-line block ×9, first 2 shown]
	v_sub_f16_e32 v29, v97, v103
	v_add_f16_e32 v79, v24, v104
	v_add_f16_e32 v24, v98, v104
	v_mul_f16_e32 v30, 0xb853, v29
	v_mul_f16_e32 v91, 0xbb47, v29
	;; [unrolled: 1-line block ×5, first 2 shown]
	v_fma_f16 v80, v24, s7, v30
	v_fma_f16 v30, v24, s7, -v30
	v_fma_f16 v92, v24, s6, v91
	v_fma_f16 v91, v24, s6, -v91
	;; [unrolled: 2-line block ×5, first 2 shown]
	v_add_f16_e32 v80, v32, v80
	v_add_f16_e32 v30, v32, v30
	v_add_f16_e32 v92, v32, v92
	v_add_f16_e32 v91, v32, v91
	v_add_f16_e32 v98, v32, v98
	v_add_f16_e32 v97, v32, v97
	v_add_f16_e32 v102, v32, v102
	v_add_f16_e32 v101, v32, v101
	v_add_f16_e32 v103, v32, v103
	v_add_f16_e32 v24, v32, v24
	v_sub_f16_e32 v32, v93, v99
	v_add_f16_e32 v29, v94, v100
	v_mul_f16_e32 v93, 0xbb47, v32
	v_fma_f16 v94, v29, s6, v93
	v_fma_f16 v93, v29, s6, -v93
	v_add_f16_e32 v30, v93, v30
	v_mul_f16_e32 v93, 0xba0c, v32
	v_add_f16_e32 v80, v94, v80
	v_fma_f16 v94, v29, s9, v93
	v_fma_f16 v93, v29, s9, -v93
	v_add_f16_e32 v91, v93, v91
	v_mul_f16_e32 v93, 0x3482, v32
	v_add_f16_e32 v92, v94, v92
	v_fma_f16 v94, v29, s10, v93
	v_fma_f16 v93, v29, s10, -v93
	v_add_f16_e32 v93, v93, v97
	v_mul_f16_e32 v97, 0x3beb, v32
	v_mul_f16_e32 v32, 0x3853, v32
	v_add_f16_e32 v94, v94, v98
	v_fma_f16 v98, v29, s8, v97
	v_fma_f16 v97, v29, s8, -v97
	v_fma_f16 v99, v29, s7, v32
	v_fma_f16 v29, v29, s7, -v32
	v_sub_f16_e32 v32, v85, v87
	v_add_f16_e32 v24, v29, v24
	v_add_f16_e32 v29, v86, v88
	v_mul_f16_e32 v85, 0xbbeb, v32
	v_fma_f16 v86, v29, s8, v85
	v_fma_f16 v85, v29, s8, -v85
	v_add_f16_e32 v30, v85, v30
	v_mul_f16_e32 v85, 0x3482, v32
	v_add_f16_e32 v80, v86, v80
	v_fma_f16 v86, v29, s10, v85
	v_fma_f16 v85, v29, s10, -v85
	v_mul_f16_e32 v87, 0x3b47, v32
	v_add_f16_e32 v85, v85, v91
	v_fma_f16 v88, v29, s6, v87
	v_fma_f16 v87, v29, s6, -v87
	v_mul_f16_e32 v91, 0xb853, v32
	v_mul_f16_e32 v32, 0xba0c, v32
	v_add_f16_e32 v86, v86, v92
	v_add_f16_e32 v87, v87, v93
	v_fma_f16 v92, v29, s7, v91
	v_fma_f16 v91, v29, s7, -v91
	v_fma_f16 v93, v29, s9, v32
	v_fma_f16 v29, v29, s9, -v32
	v_sub_f16_e32 v32, v81, v83
	v_add_f16_e32 v24, v29, v24
	v_add_f16_e32 v29, v82, v84
	v_mul_f16_e32 v81, 0xba0c, v32
	v_fma_f16 v82, v29, s9, v81
	v_fma_f16 v81, v29, s9, -v81
	v_add_f16_e32 v30, v81, v30
	v_mul_f16_e32 v81, 0x3beb, v32
	v_add_f16_e32 v80, v82, v80
	v_fma_f16 v82, v29, s8, v81
	v_fma_f16 v81, v29, s8, -v81
	v_mul_f16_e32 v83, 0xb853, v32
	v_add_f16_e32 v81, v81, v85
	v_fma_f16 v84, v29, s7, v83
	v_fma_f16 v83, v29, s7, -v83
	v_mul_f16_e32 v85, 0xb482, v32
	v_mul_f16_e32 v32, 0x3b47, v32
	v_add_f16_e32 v82, v82, v86
	v_add_f16_e32 v83, v83, v87
	v_fma_f16 v86, v29, s10, v85
	v_fma_f16 v85, v29, s10, -v85
	v_fma_f16 v87, v29, s6, v32
	v_fma_f16 v29, v29, s6, -v32
	v_sub_f16_e32 v32, v75, v77
	v_add_f16_e32 v24, v29, v24
	v_add_f16_e32 v29, v76, v78
	v_mul_f16_e32 v75, 0xb482, v32
	v_fma_f16 v76, v29, s10, v75
	v_fma_f16 v75, v29, s10, -v75
	v_add_f16_e32 v75, v75, v30
	v_mul_f16_e32 v30, 0x3853, v32
	v_fma_f16 v77, v29, s7, v30
	v_fma_f16 v30, v29, s7, -v30
	v_add_f16_e32 v78, v30, v81
	v_mul_f16_e32 v30, 0xba0c, v32
	v_add_f16_e32 v97, v97, v101
	v_add_f16_e32 v76, v76, v80
	v_fma_f16 v80, v29, s9, v30
	v_fma_f16 v30, v29, s9, -v30
	v_add_f16_e32 v91, v91, v97
	v_add_f16_e32 v81, v30, v83
	v_mul_f16_e32 v30, 0x3b47, v32
	v_add_f16_e32 v85, v85, v91
	v_add_f16_e32 v77, v77, v82
	v_fma_f16 v82, v29, s6, v30
	v_fma_f16 v30, v29, s6, -v30
	v_add_f16_e32 v83, v30, v85
	v_mul_f16_e32 v30, 0xbbeb, v32
	v_fma_f16 v32, v29, s8, v30
	v_fma_f16 v29, v29, s8, -v30
	v_add_f16_e32 v85, v29, v24
	v_add_f16_e32 v24, v28, v74
	;; [unrolled: 1-line block ×18, first 2 shown]
	v_sub_f16_e32 v29, v73, v95
	v_add_f16_e32 v80, v80, v84
	v_add_f16_e32 v82, v82, v86
	;; [unrolled: 1-line block ×5, first 2 shown]
	v_mul_f16_e32 v30, 0xb853, v29
	v_mul_f16_e32 v73, 0xbb47, v29
	;; [unrolled: 1-line block ×5, first 2 shown]
	v_fma_f16 v32, v24, s7, v30
	v_fma_f16 v30, v24, s7, -v30
	v_fma_f16 v74, v24, s6, v73
	v_fma_f16 v73, v24, s6, -v73
	;; [unrolled: 2-line block ×5, first 2 shown]
	v_sub_f16_e32 v29, v66, v89
	v_add_f16_e32 v32, v28, v32
	v_add_f16_e32 v30, v28, v30
	;; [unrolled: 1-line block ×11, first 2 shown]
	v_mul_f16_e32 v66, 0xbb47, v29
	v_fma_f16 v68, v28, s6, v66
	v_fma_f16 v66, v28, s6, -v66
	v_add_f16_e32 v30, v66, v30
	v_mul_f16_e32 v66, 0xba0c, v29
	v_add_f16_e32 v32, v68, v32
	v_fma_f16 v68, v28, s9, v66
	v_fma_f16 v66, v28, s9, -v66
	v_add_f16_e32 v66, v66, v73
	v_mul_f16_e32 v73, 0x3482, v29
	v_add_f16_e32 v68, v68, v74
	v_fma_f16 v74, v28, s10, v73
	v_fma_f16 v73, v28, s10, -v73
	v_add_f16_e32 v73, v73, v87
	v_mul_f16_e32 v87, 0x3beb, v29
	v_mul_f16_e32 v29, 0x3853, v29
	v_add_f16_e32 v74, v74, v88
	v_fma_f16 v88, v28, s8, v87
	v_fma_f16 v87, v28, s8, -v87
	v_fma_f16 v89, v28, s7, v29
	v_fma_f16 v28, v28, s7, -v29
	v_sub_f16_e32 v29, v61, v65
	v_add_f16_e32 v24, v28, v24
	v_add_f16_e32 v28, v62, v67
	v_mul_f16_e32 v61, 0xbbeb, v29
	v_fma_f16 v62, v28, s8, v61
	v_fma_f16 v61, v28, s8, -v61
	v_add_f16_e32 v30, v61, v30
	v_mul_f16_e32 v61, 0x3482, v29
	v_add_f16_e32 v32, v62, v32
	v_fma_f16 v62, v28, s10, v61
	v_fma_f16 v61, v28, s10, -v61
	v_mul_f16_e32 v65, 0x3b47, v29
	v_add_f16_e32 v61, v61, v66
	v_fma_f16 v66, v28, s6, v65
	v_fma_f16 v65, v28, s6, -v65
	v_mul_f16_e32 v67, 0xb853, v29
	v_mul_f16_e32 v29, 0xba0c, v29
	v_add_f16_e32 v62, v62, v68
	v_add_f16_e32 v65, v65, v73
	v_fma_f16 v68, v28, s7, v67
	v_fma_f16 v67, v28, s7, -v67
	v_fma_f16 v73, v28, s9, v29
	v_fma_f16 v28, v28, s9, -v29
	v_sub_f16_e32 v29, v57, v59
	v_add_f16_e32 v24, v28, v24
	v_add_f16_e32 v28, v58, v60
	v_mul_f16_e32 v57, 0xba0c, v29
	v_fma_f16 v58, v28, s9, v57
	v_fma_f16 v57, v28, s9, -v57
	v_add_f16_e32 v30, v57, v30
	v_mul_f16_e32 v57, 0x3beb, v29
	v_add_f16_e32 v32, v58, v32
	v_fma_f16 v58, v28, s8, v57
	v_fma_f16 v57, v28, s8, -v57
	v_mul_f16_e32 v59, 0xb853, v29
	v_add_f16_e32 v57, v57, v61
	v_fma_f16 v60, v28, s7, v59
	v_fma_f16 v59, v28, s7, -v59
	v_mul_f16_e32 v61, 0xb482, v29
	v_mul_f16_e32 v29, 0x3b47, v29
	v_add_f16_e32 v58, v58, v62
	v_add_f16_e32 v59, v59, v65
	v_fma_f16 v62, v28, s10, v61
	v_fma_f16 v61, v28, s10, -v61
	v_fma_f16 v65, v28, s6, v29
	v_fma_f16 v28, v28, s6, -v29
	v_sub_f16_e32 v29, v53, v55
	v_add_f16_e32 v24, v28, v24
	v_add_f16_e32 v28, v54, v56
	v_mul_f16_e32 v53, 0xb482, v29
	v_add_f16_e32 v87, v87, v91
	v_add_f16_e32 v66, v66, v74
	v_fma_f16 v54, v28, s10, v53
	v_add_f16_e32 v67, v67, v87
	v_add_f16_e32 v60, v60, v66
	;; [unrolled: 1-line block ×3, first 2 shown]
	v_fma_f16 v32, v28, s10, -v53
	v_add_f16_e32 v89, v89, v93
	v_add_f16_e32 v61, v61, v67
	;; [unrolled: 1-line block ×3, first 2 shown]
	v_mul_f16_e32 v30, 0x3853, v29
	v_add_f16_e32 v88, v88, v92
	v_add_f16_e32 v73, v73, v89
	v_fma_f16 v32, v28, s7, v30
	v_fma_f16 v30, v28, s7, -v30
	v_add_f16_e32 v68, v68, v88
	v_add_f16_e32 v65, v65, v73
	;; [unrolled: 1-line block ×3, first 2 shown]
	v_mul_f16_e32 v30, 0xba0c, v29
	v_add_f16_e32 v62, v62, v68
	v_add_f16_e32 v68, v32, v58
	v_fma_f16 v32, v28, s9, v30
	v_fma_f16 v30, v28, s9, -v30
	v_add_f16_e32 v87, v30, v59
	v_mul_f16_e32 v30, 0x3b47, v29
	v_add_f16_e32 v74, v32, v60
	v_fma_f16 v32, v28, s6, v30
	v_fma_f16 v30, v28, s6, -v30
	v_mul_f16_e32 v29, 0xbbeb, v29
	v_add_f16_e32 v89, v30, v61
	v_fma_f16 v30, v28, s8, v29
	v_fma_f16 v28, v28, s8, -v29
	v_add_f16_e32 v91, v28, v24
	v_add_f16_e32 v24, v25, v52
	;; [unrolled: 1-line block ×10, first 2 shown]
	v_sub_f16_e32 v28, v51, v69
	v_add_f16_e32 v88, v32, v62
	v_add_f16_e32 v92, v24, v70
	;; [unrolled: 1-line block ×3, first 2 shown]
	v_mul_f16_e32 v29, 0xb853, v28
	v_mul_f16_e32 v32, 0xbb47, v28
	;; [unrolled: 1-line block ×5, first 2 shown]
	v_add_f16_e32 v90, v30, v65
	v_fma_f16 v30, v24, s7, v29
	v_fma_f16 v29, v24, s7, -v29
	v_fma_f16 v51, v24, s6, v32
	v_fma_f16 v32, v24, s6, -v32
	;; [unrolled: 2-line block ×5, first 2 shown]
	v_sub_f16_e32 v28, v48, v63
	v_add_f16_e32 v30, v25, v30
	v_add_f16_e32 v29, v25, v29
	v_add_f16_e32 v51, v25, v51
	v_add_f16_e32 v32, v25, v32
	v_add_f16_e32 v53, v25, v53
	v_add_f16_e32 v52, v25, v52
	v_add_f16_e32 v55, v25, v55
	v_add_f16_e32 v54, v25, v54
	v_add_f16_e32 v56, v25, v56
	v_add_f16_e32 v24, v25, v24
	v_add_f16_e32 v25, v50, v64
	v_mul_f16_e32 v48, 0xbb47, v28
	v_fma_f16 v50, v25, s6, v48
	v_fma_f16 v48, v25, s6, -v48
	v_add_f16_e32 v29, v48, v29
	v_mul_f16_e32 v48, 0xba0c, v28
	v_add_f16_e32 v30, v50, v30
	v_fma_f16 v50, v25, s9, v48
	v_fma_f16 v48, v25, s9, -v48
	v_add_f16_e32 v32, v48, v32
	v_mul_f16_e32 v48, 0x3482, v28
	v_add_f16_e32 v50, v50, v51
	;; [unrolled: 5-line block ×3, first 2 shown]
	v_fma_f16 v53, v25, s8, v52
	v_fma_f16 v52, v25, s8, -v52
	v_mul_f16_e32 v28, 0x3853, v28
	v_add_f16_e32 v52, v52, v54
	v_fma_f16 v54, v25, s7, v28
	v_fma_f16 v25, v25, s7, -v28
	v_sub_f16_e32 v28, v45, v47
	v_add_f16_e32 v24, v25, v24
	v_add_f16_e32 v25, v46, v49
	v_mul_f16_e32 v45, 0xbbeb, v28
	v_fma_f16 v46, v25, s8, v45
	v_fma_f16 v45, v25, s8, -v45
	v_add_f16_e32 v29, v45, v29
	v_mul_f16_e32 v45, 0x3482, v28
	v_add_f16_e32 v30, v46, v30
	v_fma_f16 v46, v25, s10, v45
	v_fma_f16 v45, v25, s10, -v45
	v_add_f16_e32 v32, v45, v32
	v_mul_f16_e32 v45, 0x3b47, v28
	v_fma_f16 v47, v25, s6, v45
	v_fma_f16 v45, v25, s6, -v45
	v_add_f16_e32 v45, v45, v48
	v_mul_f16_e32 v48, 0xb853, v28
	v_mul_f16_e32 v28, 0xba0c, v28
	v_add_f16_e32 v46, v46, v50
	v_fma_f16 v49, v25, s7, v48
	v_fma_f16 v48, v25, s7, -v48
	v_fma_f16 v50, v25, s9, v28
	v_fma_f16 v25, v25, s9, -v28
	v_sub_f16_e32 v28, v41, v43
	v_add_f16_e32 v24, v25, v24
	v_add_f16_e32 v25, v42, v44
	v_mul_f16_e32 v41, 0xba0c, v28
	v_fma_f16 v42, v25, s9, v41
	v_fma_f16 v41, v25, s9, -v41
	v_add_f16_e32 v29, v41, v29
	v_mul_f16_e32 v41, 0x3beb, v28
	v_add_f16_e32 v30, v42, v30
	v_fma_f16 v42, v25, s8, v41
	v_fma_f16 v41, v25, s8, -v41
	v_add_f16_e32 v32, v41, v32
	v_mul_f16_e32 v41, 0xb853, v28
	v_fma_f16 v43, v25, s7, v41
	v_fma_f16 v41, v25, s7, -v41
	v_mul_f16_e32 v44, 0xb482, v28
	v_mul_f16_e32 v28, 0x3b47, v28
	v_add_f16_e32 v42, v42, v46
	v_add_f16_e32 v41, v41, v45
	v_fma_f16 v45, v25, s10, v44
	v_fma_f16 v44, v25, s10, -v44
	v_fma_f16 v46, v25, s6, v28
	v_fma_f16 v25, v25, s6, -v28
	v_sub_f16_e32 v28, v37, v39
	v_add_f16_e32 v24, v25, v24
	v_add_f16_e32 v25, v38, v40
	v_mul_f16_e32 v37, 0xb482, v28
	v_fma_f16 v38, v25, s10, v37
	v_add_f16_e32 v69, v38, v30
	v_fma_f16 v30, v25, s10, -v37
	v_add_f16_e32 v70, v30, v29
	v_mul_f16_e32 v29, 0x3853, v28
	v_fma_f16 v30, v25, s7, v29
	v_fma_f16 v29, v25, s7, -v29
	v_add_f16_e32 v94, v29, v32
	v_mul_f16_e32 v29, 0xba0c, v28
	v_add_f16_e32 v47, v47, v51
	v_add_f16_e32 v93, v30, v42
	v_fma_f16 v30, v25, s9, v29
	v_fma_f16 v29, v25, s9, -v29
	v_add_f16_e32 v53, v53, v55
	v_add_f16_e32 v54, v54, v56
	;; [unrolled: 1-line block ×5, first 2 shown]
	v_mul_f16_e32 v29, 0x3b47, v28
	v_add_f16_e32 v49, v49, v53
	v_add_f16_e32 v50, v50, v54
	;; [unrolled: 1-line block ×4, first 2 shown]
	v_fma_f16 v30, v25, s6, v29
	v_fma_f16 v29, v25, s6, -v29
	v_mul_f16_e32 v28, 0xbbeb, v28
	v_add_f16_e32 v45, v45, v49
	v_add_f16_e32 v46, v46, v50
	;; [unrolled: 1-line block ×3, first 2 shown]
	v_fma_f16 v29, v25, s8, v28
	v_fma_f16 v25, v25, s8, -v28
	v_add_f16_e32 v97, v30, v45
	v_add_f16_e32 v99, v29, v46
	;; [unrolled: 1-line block ×3, first 2 shown]
	s_waitcnt lgkmcnt(0)
	; wave barrier
	s_waitcnt lgkmcnt(0)
	ds_read_u16 v58, v17 offset:1650
	ds_read_u16 v53, v17 offset:2420
	;; [unrolled: 1-line block ×6, first 2 shown]
	ds_read_u16 v37, v17
	ds_read_u16 v32, v17 offset:110
	ds_read_u16 v30, v17 offset:220
	ds_read_u16 v29, v17 offset:330
	ds_read_u16 v28, v17 offset:440
	ds_read_u16 v25, v17 offset:550
	ds_read_u16 v61, v17 offset:880
	ds_read_u16 v59, v17 offset:990
	ds_read_u16 v55, v17 offset:1100
	ds_read_u16 v48, v17 offset:1210
	ds_read_u16 v43, v17 offset:1320
	ds_read_u16 v60, v17 offset:1760
	ds_read_u16 v56, v17 offset:1870
	ds_read_u16 v49, v17 offset:1980
	ds_read_u16 v44, v17 offset:2090
	ds_read_u16 v54, v17 offset:2640
	ds_read_u16 v47, v17 offset:2750
	ds_read_u16 v42, v17 offset:2860
	ds_read_u16 v64, v17 offset:770
	ds_read_u16 v24, v17 offset:660
	ds_read_u16 v65, v17 offset:1540
	ds_read_u16 v41, v17 offset:1430
	ds_read_u16 v63, v17 offset:2310
	ds_read_u16 v40, v17 offset:2200
	ds_read_u16 v62, v17 offset:3080
	ds_read_u16 v39, v17 offset:2970
	ds_read_u16 v52, v17 offset:3520
	ds_read_u16 v46, v17 offset:3630
	ds_read_u16 v38, v17 offset:3740
	s_waitcnt lgkmcnt(0)
	; wave barrier
	s_waitcnt lgkmcnt(0)
	ds_write_b16 v71, v79
	ds_write_b16 v71, v76 offset:14
	ds_write_b16 v71, v77 offset:28
	ds_write_b16 v71, v80 offset:42
	ds_write_b16 v71, v82 offset:56
	ds_write_b16 v71, v84 offset:70
	ds_write_b16 v71, v85 offset:84
	ds_write_b16 v71, v83 offset:98
	ds_write_b16 v71, v81 offset:112
	ds_write_b16 v71, v78 offset:126
	ds_write_b16 v71, v75 offset:140
	ds_write_b16 v31, v86
	ds_write_b16 v31, v66 offset:14
	ds_write_b16 v31, v68 offset:28
	ds_write_b16 v31, v74 offset:42
	ds_write_b16 v31, v88 offset:56
	ds_write_b16 v31, v90 offset:70
	ds_write_b16 v31, v91 offset:84
	ds_write_b16 v31, v89 offset:98
	ds_write_b16 v31, v87 offset:112
	ds_write_b16 v31, v73 offset:126
	ds_write_b16 v31, v67 offset:140
	;; [unrolled: 11-line block ×3, first 2 shown]
	s_and_saveexec_b64 s[2:3], vcc
	s_cbranch_execz .LBB0_19
; %bb.18:
	v_add_f16_e32 v31, v23, v15
	v_add_f16_e32 v31, v31, v13
	;; [unrolled: 1-line block ×8, first 2 shown]
	v_sub_f16_e32 v14, v14, v35
	v_add_f16_e32 v31, v31, v34
	v_add_f16_e32 v15, v15, v36
	v_mul_f16_e32 v35, 0xb853, v14
	s_movk_i32 s6, 0x3abb
	v_mul_f16_e32 v66, 0xbb47, v14
	s_movk_i32 s7, 0x36a6
	v_mul_f16_e32 v68, 0xbbeb, v14
	v_mul_f16_e32 v70, 0xba0c, v14
	;; [unrolled: 1-line block ×3, first 2 shown]
	v_sub_f16_e32 v11, v11, v33
	v_add_f16_e32 v31, v31, v36
	v_fma_f16 v36, v15, s6, v35
	v_fma_f16 v35, v15, s6, -v35
	v_fma_f16 v67, v15, s7, v66
	v_fma_f16 v66, v15, s7, -v66
	;; [unrolled: 2-line block ×5, first 2 shown]
	v_add_f16_e32 v13, v13, v34
	v_mul_f16_e32 v15, 0xbb47, v11
	v_add_f16_e32 v36, v23, v36
	v_add_f16_e32 v35, v23, v35
	;; [unrolled: 1-line block ×10, first 2 shown]
	v_fma_f16 v23, v13, s7, v15
	v_fma_f16 v15, v13, s7, -v15
	v_mul_f16_e32 v33, 0xba0c, v11
	v_add_f16_e32 v15, v15, v35
	v_fma_f16 v34, v13, s9, v33
	v_fma_f16 v33, v13, s9, -v33
	v_mul_f16_e32 v35, 0x3482, v11
	v_sub_f16_e32 v8, v8, v10
	v_add_f16_e32 v23, v23, v36
	v_add_f16_e32 v33, v33, v66
	v_fma_f16 v36, v13, s10, v35
	v_fma_f16 v35, v13, s10, -v35
	v_mul_f16_e32 v66, 0x3beb, v11
	v_mul_f16_e32 v11, 0x3853, v11
	v_add_f16_e32 v9, v9, v12
	v_mul_f16_e32 v10, 0xbbeb, v8
	v_add_f16_e32 v34, v34, v67
	v_add_f16_e32 v35, v35, v68
	v_fma_f16 v67, v13, s8, v66
	v_fma_f16 v66, v13, s8, -v66
	v_fma_f16 v68, v13, s6, v11
	v_fma_f16 v11, v13, s6, -v11
	v_fma_f16 v12, v9, s8, v10
	v_fma_f16 v10, v9, s8, -v10
	v_mul_f16_e32 v13, 0x3482, v8
	v_add_f16_e32 v11, v11, v14
	v_add_f16_e32 v10, v10, v15
	v_fma_f16 v14, v9, s10, v13
	v_fma_f16 v13, v9, s10, -v13
	v_mul_f16_e32 v15, 0x3b47, v8
	v_sub_f16_e32 v4, v4, v6
	v_add_f16_e32 v12, v12, v23
	v_add_f16_e32 v13, v13, v33
	v_fma_f16 v23, v9, s7, v15
	v_fma_f16 v15, v9, s7, -v15
	v_mul_f16_e32 v33, 0xb853, v8
	v_mul_f16_e32 v8, 0xba0c, v8
	v_add_f16_e32 v5, v5, v7
	v_mul_f16_e32 v6, 0xba0c, v4
	v_add_f16_e32 v14, v14, v34
	v_add_f16_e32 v15, v15, v35
	v_fma_f16 v34, v9, s6, v33
	v_fma_f16 v33, v9, s6, -v33
	v_fma_f16 v35, v9, s9, v8
	v_fma_f16 v8, v9, s9, -v8
	v_fma_f16 v7, v5, s9, v6
	v_fma_f16 v6, v5, s9, -v6
	v_mul_f16_e32 v9, 0x3beb, v4
	v_add_f16_e32 v8, v8, v11
	;; [unrolled: 23-line block ×3, first 2 shown]
	v_add_f16_e32 v2, v2, v6
	v_fma_f16 v6, v1, s6, v5
	v_fma_f16 v5, v1, s6, -v5
	v_mul_f16_e32 v7, 0xba0c, v0
	v_add_f16_e32 v4, v4, v8
	v_add_f16_e32 v5, v5, v9
	v_fma_f16 v8, v1, s9, v7
	v_fma_f16 v7, v1, s9, -v7
	v_mul_f16_e32 v9, 0x3b47, v0
	v_mul_f16_e32 v0, 0xbbeb, v0
	v_add_f16_e32 v7, v7, v11
	v_fma_f16 v11, v1, s8, v0
	v_fma_f16 v0, v1, s8, -v0
	v_add_f16_e32 v36, v36, v69
	v_add_f16_e32 v67, v67, v71
	;; [unrolled: 1-line block ×5, first 2 shown]
	v_mov_b32_e32 v4, 1
	v_add_f16_e32 v23, v23, v36
	v_add_f16_e32 v34, v34, v67
	;; [unrolled: 1-line block ×5, first 2 shown]
	v_fma_f16 v10, v1, s7, v9
	v_fma_f16 v9, v1, s7, -v9
	v_mul_u32_u24_e32 v1, 0x9a, v26
	v_lshlrev_b32_sdwa v4, v4, v27 dst_sel:DWORD dst_unused:UNUSED_PAD src0_sel:DWORD src1_sel:BYTE_0
	v_add_f16_e32 v12, v12, v23
	v_add_f16_e32 v14, v14, v34
	;; [unrolled: 1-line block ×4, first 2 shown]
	v_add3_u32 v1, 0, v1, v4
	v_add_f16_e32 v8, v8, v12
	v_add_f16_e32 v10, v10, v14
	;; [unrolled: 1-line block ×4, first 2 shown]
	ds_write_b16 v1, v31
	ds_write_b16 v1, v3 offset:14
	ds_write_b16 v1, v6 offset:28
	;; [unrolled: 1-line block ×10, first 2 shown]
.LBB0_19:
	s_or_b64 exec, exec, s[2:3]
	v_lshlrev_b32_e32 v8, 2, v16
	v_mov_b32_e32 v9, 0
	v_lshl_add_u64 v[10:11], v[8:9], 2, s[4:5]
	s_waitcnt lgkmcnt(0)
	; wave barrier
	s_waitcnt lgkmcnt(0)
	global_load_dwordx4 v[66:69], v[10:11], off offset:280
	v_subrev_u32_e32 v0, 22, v16
	v_cmp_gt_u32_e32 vcc, 22, v16
	s_movk_i32 s2, 0xd5
	v_mul_lo_u16_sdwa v1, v21, s2 dst_sel:DWORD dst_unused:UNUSED_PAD src0_sel:BYTE_0 src1_sel:DWORD
	v_cndmask_b32_e32 v0, v0, v20, vcc
	v_lshlrev_b32_e32 v8, 2, v0
	v_lshl_add_u64 v[2:3], v[8:9], 2, s[4:5]
	global_load_dwordx4 v[70:73], v[2:3], off offset:280
	v_lshrrev_b16_e32 v1, 14, v1
	v_mul_lo_u16_e32 v2, 0x4d, v1
	v_mov_b32_e32 v3, 4
	v_sub_u16_e32 v2, v21, v2
	v_lshlrev_b32_sdwa v3, v3, v2 dst_sel:DWORD dst_unused:UNUSED_PAD src0_sel:DWORD src1_sel:BYTE_0
	ds_read_u16 v27, v17 offset:1650
	ds_read_u16 v31, v17 offset:2420
	;; [unrolled: 1-line block ×6, first 2 shown]
	ds_read_u16 v90, v17
	ds_read_u16 v91, v17 offset:110
	ds_read_u16 v92, v17 offset:220
	;; [unrolled: 1-line block ×5, first 2 shown]
	global_load_dwordx4 v[74:77], v3, s[4:5] offset:280
	v_mul_lo_u16_sdwa v3, v22, s2 dst_sel:DWORD dst_unused:UNUSED_PAD src0_sel:BYTE_0 src1_sel:DWORD
	v_lshrrev_b16_e32 v3, 14, v3
	v_mul_lo_u16_e32 v3, 0x4d, v3
	v_sub_u16_e32 v3, v22, v3
	v_and_b32_e32 v3, 0xff, v3
	v_lshlrev_b32_e32 v5, 4, v3
	v_add_u32_e32 v13, 0xdc, v16
	ds_read_u16 v94, v17 offset:880
	ds_read_u16 v95, v17 offset:990
	;; [unrolled: 1-line block ×9, first 2 shown]
	global_load_dwordx4 v[78:81], v5, s[4:5] offset:280
	ds_read_u16 v103, v17 offset:2640
	ds_read_u16 v104, v17 offset:2750
	;; [unrolled: 1-line block ×11, first 2 shown]
	s_movk_i32 s2, 0x1a99
	v_mul_u32_u24_sdwa v5, v13, s2 dst_sel:DWORD dst_unused:UNUSED_PAD src0_sel:WORD_0 src1_sel:DWORD
	v_lshrrev_b32_e32 v5, 19, v5
	v_mul_lo_u16_e32 v6, 0x4d, v5
	v_sub_u16_e32 v6, v13, v6
	v_add_u32_e32 v4, 0x113, v16
	v_add_u32_e32 v12, 0x14a, v16
	v_lshlrev_b32_e32 v8, 4, v6
	global_load_dwordx4 v[82:85], v8, s[4:5] offset:280
	v_mul_u32_u24_sdwa v8, v4, s2 dst_sel:DWORD dst_unused:UNUSED_PAD src0_sel:WORD_0 src1_sel:DWORD
	v_lshrrev_b32_e32 v8, 19, v8
	v_mul_lo_u16_e32 v14, 0x4d, v8
	v_sub_u16_e32 v14, v4, v14
	v_lshlrev_b32_e32 v86, 4, v14
	ds_read_u16 v112, v17 offset:3520
	ds_read_u16 v113, v17 offset:3630
	;; [unrolled: 1-line block ×3, first 2 shown]
	s_mov_b32 s7, 0xbb9c
	s_movk_i32 s3, 0x38b4
	s_mov_b32 s8, 0xb8b4
	s_movk_i32 s6, 0x34f2
	v_cmp_lt_u32_e32 vcc, 21, v16
	v_lshlrev_b32_e32 v0, 1, v0
	v_mul_u32_u24_e32 v1, 0x302, v1
	s_waitcnt vmcnt(4) lgkmcnt(10)
	v_mul_f16_sdwa v87, v23, v66 dst_sel:DWORD dst_unused:UNUSED_PAD src0_sel:DWORD src1_sel:WORD_1
	v_mul_f16_sdwa v88, v64, v66 dst_sel:DWORD dst_unused:UNUSED_PAD src0_sel:DWORD src1_sel:WORD_1
	s_waitcnt lgkmcnt(8)
	v_mul_f16_sdwa v89, v106, v67 dst_sel:DWORD dst_unused:UNUSED_PAD src0_sel:DWORD src1_sel:WORD_1
	v_mul_f16_sdwa v115, v65, v67 dst_sel:DWORD dst_unused:UNUSED_PAD src0_sel:DWORD src1_sel:WORD_1
	v_fma_f16 v116, v64, v66, -v87
	v_fma_f16 v66, v23, v66, v88
	s_waitcnt lgkmcnt(6)
	v_mul_f16_sdwa v23, v108, v68 dst_sel:DWORD dst_unused:UNUSED_PAD src0_sel:DWORD src1_sel:WORD_1
	v_fma_f16 v117, v65, v67, -v89
	v_fma_f16 v67, v106, v67, v115
	v_fma_f16 v106, v63, v68, -v23
	v_mul_f16_sdwa v23, v63, v68 dst_sel:DWORD dst_unused:UNUSED_PAD src0_sel:DWORD src1_sel:WORD_1
	v_fma_f16 v68, v108, v68, v23
	s_waitcnt lgkmcnt(4)
	v_mul_f16_sdwa v23, v110, v69 dst_sel:DWORD dst_unused:UNUSED_PAD src0_sel:DWORD src1_sel:WORD_1
	v_fma_f16 v108, v62, v69, -v23
	v_mul_f16_sdwa v23, v62, v69 dst_sel:DWORD dst_unused:UNUSED_PAD src0_sel:DWORD src1_sel:WORD_1
	v_fma_f16 v69, v110, v69, v23
	v_mul_u32_u24_sdwa v23, v12, s2 dst_sel:DWORD dst_unused:UNUSED_PAD src0_sel:WORD_0 src1_sel:DWORD
	v_lshrrev_b32_e32 v23, 19, v23
	v_mul_lo_u16_e32 v23, 0x4d, v23
	v_sub_u16_e32 v23, v12, v23
	v_lshlrev_b32_e32 v62, 4, v23
	global_load_dwordx4 v[86:89], v86, s[4:5] offset:280
	s_waitcnt vmcnt(4)
	v_mul_f16_sdwa v110, v94, v70 dst_sel:DWORD dst_unused:UNUSED_PAD src0_sel:DWORD src1_sel:WORD_1
	global_load_dwordx4 v[62:65], v62, s[4:5] offset:280
	v_fma_f16 v110, v61, v70, -v110
	v_mul_f16_sdwa v61, v61, v70 dst_sel:DWORD dst_unused:UNUSED_PAD src0_sel:DWORD src1_sel:WORD_1
	v_fma_f16 v61, v94, v70, v61
	v_mul_f16_sdwa v70, v27, v71 dst_sel:DWORD dst_unused:UNUSED_PAD src0_sel:DWORD src1_sel:WORD_1
	v_fma_f16 v70, v58, v71, -v70
	v_mul_f16_sdwa v58, v58, v71 dst_sel:DWORD dst_unused:UNUSED_PAD src0_sel:DWORD src1_sel:WORD_1
	v_fma_f16 v27, v27, v71, v58
	v_mul_f16_sdwa v58, v31, v72 dst_sel:DWORD dst_unused:UNUSED_PAD src0_sel:DWORD src1_sel:WORD_1
	v_fma_f16 v58, v53, v72, -v58
	v_mul_f16_sdwa v53, v53, v72 dst_sel:DWORD dst_unused:UNUSED_PAD src0_sel:DWORD src1_sel:WORD_1
	v_fma_f16 v31, v31, v72, v53
	s_waitcnt vmcnt(4)
	v_mul_f16_sdwa v72, v33, v76 dst_sel:DWORD dst_unused:UNUSED_PAD src0_sel:DWORD src1_sel:WORD_1
	v_mul_f16_sdwa v53, v34, v73 dst_sel:DWORD dst_unused:UNUSED_PAD src0_sel:DWORD src1_sel:WORD_1
	;; [unrolled: 1-line block ×3, first 2 shown]
	v_fma_f16 v72, v51, v76, -v72
	v_mul_f16_sdwa v51, v51, v76 dst_sel:DWORD dst_unused:UNUSED_PAD src0_sel:DWORD src1_sel:WORD_1
	v_fma_f16 v53, v57, v73, -v53
	v_mul_f16_sdwa v57, v57, v73 dst_sel:DWORD dst_unused:UNUSED_PAD src0_sel:DWORD src1_sel:WORD_1
	;; [unrolled: 2-line block ×3, first 2 shown]
	v_fma_f16 v33, v33, v76, v51
	v_mul_f16_sdwa v51, v35, v77 dst_sel:DWORD dst_unused:UNUSED_PAD src0_sel:DWORD src1_sel:WORD_1
	s_waitcnt vmcnt(2)
	v_mul_f16_sdwa v76, v101, v83 dst_sel:DWORD dst_unused:UNUSED_PAD src0_sel:DWORD src1_sel:WORD_1
	v_fma_f16 v34, v34, v73, v57
	v_mul_f16_sdwa v57, v95, v74 dst_sel:DWORD dst_unused:UNUSED_PAD src0_sel:DWORD src1_sel:WORD_1
	v_fma_f16 v60, v99, v75, v60
	v_fma_f16 v51, v50, v77, -v51
	v_mul_f16_sdwa v50, v50, v77 dst_sel:DWORD dst_unused:UNUSED_PAD src0_sel:DWORD src1_sel:WORD_1
	v_mul_f16_sdwa v75, v36, v81 dst_sel:DWORD dst_unused:UNUSED_PAD src0_sel:DWORD src1_sel:WORD_1
	v_fma_f16 v76, v49, v83, -v76
	v_mul_f16_sdwa v49, v49, v83 dst_sel:DWORD dst_unused:UNUSED_PAD src0_sel:DWORD src1_sel:WORD_1
	v_fma_f16 v57, v59, v74, -v57
	v_mul_f16_sdwa v59, v59, v74 dst_sel:DWORD dst_unused:UNUSED_PAD src0_sel:DWORD src1_sel:WORD_1
	v_fma_f16 v35, v35, v77, v50
	v_mul_f16_sdwa v50, v96, v78 dst_sel:DWORD dst_unused:UNUSED_PAD src0_sel:DWORD src1_sel:WORD_1
	v_fma_f16 v75, v45, v81, -v75
	v_mul_f16_sdwa v45, v45, v81 dst_sel:DWORD dst_unused:UNUSED_PAD src0_sel:DWORD src1_sel:WORD_1
	v_fma_f16 v49, v101, v83, v49
	v_fma_f16 v59, v95, v74, v59
	v_fma_f16 v50, v55, v78, -v50
	v_mul_f16_sdwa v55, v55, v78 dst_sel:DWORD dst_unused:UNUSED_PAD src0_sel:DWORD src1_sel:WORD_1
	v_mul_f16_sdwa v73, v100, v79 dst_sel:DWORD dst_unused:UNUSED_PAD src0_sel:DWORD src1_sel:WORD_1
	;; [unrolled: 1-line block ×3, first 2 shown]
	v_fma_f16 v36, v36, v81, v45
	v_mul_f16_sdwa v45, v97, v82 dst_sel:DWORD dst_unused:UNUSED_PAD src0_sel:DWORD src1_sel:WORD_1
	v_mul_f16_sdwa v77, v104, v84 dst_sel:DWORD dst_unused:UNUSED_PAD src0_sel:DWORD src1_sel:WORD_1
	v_fma_f16 v55, v96, v78, v55
	v_fma_f16 v73, v56, v79, -v73
	v_mul_f16_sdwa v56, v56, v79 dst_sel:DWORD dst_unused:UNUSED_PAD src0_sel:DWORD src1_sel:WORD_1
	v_fma_f16 v74, v54, v80, -v74
	v_mul_f16_sdwa v54, v54, v80 dst_sel:DWORD dst_unused:UNUSED_PAD src0_sel:DWORD src1_sel:WORD_1
	v_fma_f16 v45, v48, v82, -v45
	v_mul_f16_sdwa v48, v48, v82 dst_sel:DWORD dst_unused:UNUSED_PAD src0_sel:DWORD src1_sel:WORD_1
	v_fma_f16 v77, v47, v84, -v77
	v_mul_f16_sdwa v47, v47, v84 dst_sel:DWORD dst_unused:UNUSED_PAD src0_sel:DWORD src1_sel:WORD_1
	s_waitcnt lgkmcnt(2)
	v_mul_f16_sdwa v78, v112, v85 dst_sel:DWORD dst_unused:UNUSED_PAD src0_sel:DWORD src1_sel:WORD_1
	v_fma_f16 v56, v100, v79, v56
	v_fma_f16 v54, v103, v80, v54
	;; [unrolled: 1-line block ×4, first 2 shown]
	v_fma_f16 v78, v52, v85, -v78
	v_mul_f16_sdwa v52, v52, v85 dst_sel:DWORD dst_unused:UNUSED_PAD src0_sel:DWORD src1_sel:WORD_1
	v_add_f16_e32 v84, v117, v106
	v_fma_f16 v52, v112, v85, v52
	v_fma_f16 v84, v84, -0.5, v37
	v_sub_f16_e32 v85, v66, v69
	s_movk_i32 s2, 0x3b9c
	v_sub_f16_e32 v94, v106, v108
	v_sub_f16_e32 v95, v117, v106
	;; [unrolled: 1-line block ×4, first 2 shown]
	v_add_f16_e32 v96, v96, v97
	v_sub_f16_e32 v97, v53, v58
	v_sub_f16_e32 v99, v72, v51
	s_waitcnt lgkmcnt(0)
	; wave barrier
	s_waitcnt vmcnt(1) lgkmcnt(0)
	v_mul_f16_sdwa v79, v98, v86 dst_sel:DWORD dst_unused:UNUSED_PAD src0_sel:DWORD src1_sel:WORD_1
	v_mul_f16_sdwa v80, v102, v87 dst_sel:DWORD dst_unused:UNUSED_PAD src0_sel:DWORD src1_sel:WORD_1
	s_waitcnt vmcnt(0)
	v_mul_f16_sdwa v83, v107, v62 dst_sel:DWORD dst_unused:UNUSED_PAD src0_sel:DWORD src1_sel:WORD_1
	v_fma_f16 v83, v41, v62, -v83
	v_mul_f16_sdwa v41, v41, v62 dst_sel:DWORD dst_unused:UNUSED_PAD src0_sel:DWORD src1_sel:WORD_1
	v_fma_f16 v41, v107, v62, v41
	v_mul_f16_sdwa v62, v109, v63 dst_sel:DWORD dst_unused:UNUSED_PAD src0_sel:DWORD src1_sel:WORD_1
	v_mul_f16_sdwa v81, v105, v88 dst_sel:DWORD dst_unused:UNUSED_PAD src0_sel:DWORD src1_sel:WORD_1
	v_mul_f16_sdwa v82, v113, v89 dst_sel:DWORD dst_unused:UNUSED_PAD src0_sel:DWORD src1_sel:WORD_1
	v_fma_f16 v62, v40, v63, -v62
	v_mul_f16_sdwa v40, v40, v63 dst_sel:DWORD dst_unused:UNUSED_PAD src0_sel:DWORD src1_sel:WORD_1
	v_fma_f16 v79, v43, v86, -v79
	v_mul_f16_sdwa v43, v43, v86 dst_sel:DWORD dst_unused:UNUSED_PAD src0_sel:DWORD src1_sel:WORD_1
	;; [unrolled: 2-line block ×5, first 2 shown]
	v_fma_f16 v40, v109, v63, v40
	v_mul_f16_sdwa v63, v111, v64 dst_sel:DWORD dst_unused:UNUSED_PAD src0_sel:DWORD src1_sel:WORD_1
	v_fma_f16 v43, v98, v86, v43
	v_fma_f16 v44, v102, v87, v44
	;; [unrolled: 1-line block ×4, first 2 shown]
	v_fma_f16 v63, v39, v64, -v63
	v_mul_f16_sdwa v39, v39, v64 dst_sel:DWORD dst_unused:UNUSED_PAD src0_sel:DWORD src1_sel:WORD_1
	v_fma_f16 v86, v85, s2, v84
	v_sub_f16_e32 v87, v67, v68
	v_sub_f16_e32 v88, v116, v117
	;; [unrolled: 1-line block ×3, first 2 shown]
	v_fma_f16 v84, v85, s7, v84
	v_fma_f16 v39, v111, v64, v39
	v_mul_f16_sdwa v64, v114, v65 dst_sel:DWORD dst_unused:UNUSED_PAD src0_sel:DWORD src1_sel:WORD_1
	v_fma_f16 v86, v87, s3, v86
	v_add_f16_e32 v88, v88, v89
	v_fma_f16 v84, v87, s8, v84
	v_fma_f16 v64, v38, v65, -v64
	v_mul_f16_sdwa v38, v38, v65 dst_sel:DWORD dst_unused:UNUSED_PAD src0_sel:DWORD src1_sel:WORD_1
	v_fma_f16 v86, v88, s6, v86
	v_fma_f16 v84, v88, s6, v84
	v_add_f16_e32 v88, v116, v108
	v_fma_f16 v38, v114, v65, v38
	v_add_f16_e32 v65, v37, v116
	v_fma_f16 v37, v88, -0.5, v37
	v_fma_f16 v88, v87, s7, v37
	v_sub_f16_e32 v89, v117, v116
	v_fma_f16 v37, v87, s2, v37
	v_fma_f16 v88, v85, s3, v88
	v_add_f16_e32 v89, v89, v94
	v_fma_f16 v37, v85, s8, v37
	v_add_f16_e32 v87, v67, v68
	v_fma_f16 v88, v89, s6, v88
	v_fma_f16 v37, v89, s6, v37
	v_fma_f16 v87, v87, -0.5, v90
	v_sub_f16_e32 v89, v116, v108
	v_fma_f16 v94, v89, s7, v87
	v_fma_f16 v87, v89, s2, v87
	v_add_f16_e32 v85, v90, v66
	v_fma_f16 v94, v95, s8, v94
	v_fma_f16 v87, v95, s3, v87
	v_add_f16_e32 v85, v85, v67
	;; [unrolled: 3-line block ×3, first 2 shown]
	v_add_f16_e32 v85, v85, v68
	v_fma_f16 v90, v96, -0.5, v90
	v_add_f16_e32 v85, v85, v69
	v_fma_f16 v96, v95, s2, v90
	v_sub_f16_e32 v66, v67, v66
	v_sub_f16_e32 v67, v68, v69
	v_fma_f16 v68, v95, s7, v90
	v_add_f16_e32 v69, v70, v58
	v_fma_f16 v96, v89, s8, v96
	v_add_f16_e32 v66, v66, v67
	v_fma_f16 v68, v89, s3, v68
	v_fma_f16 v69, v69, -0.5, v32
	v_sub_f16_e32 v89, v61, v34
	v_fma_f16 v67, v66, s6, v96
	v_fma_f16 v90, v89, s2, v69
	v_sub_f16_e32 v95, v27, v31
	v_sub_f16_e32 v96, v110, v70
	v_fma_f16 v69, v89, s7, v69
	v_fma_f16 v90, v95, s3, v90
	v_add_f16_e32 v96, v96, v97
	v_fma_f16 v69, v95, s8, v69
	v_fma_f16 v66, v66, s6, v68
	v_add_f16_e32 v68, v32, v110
	;; [unrolled: 3-line block ×3, first 2 shown]
	v_add_f16_e32 v68, v68, v70
	v_fma_f16 v32, v96, -0.5, v32
	v_add_f16_e32 v68, v68, v58
	v_fma_f16 v96, v95, s7, v32
	v_sub_f16_e32 v97, v70, v110
	v_sub_f16_e32 v98, v58, v53
	v_fma_f16 v32, v95, s2, v32
	v_add_f16_e32 v95, v27, v31
	v_add_f16_e32 v68, v68, v53
	v_fma_f16 v96, v89, s3, v96
	v_add_f16_e32 v97, v97, v98
	v_fma_f16 v32, v89, s8, v32
	v_fma_f16 v95, v95, -0.5, v91
	v_sub_f16_e32 v53, v110, v53
	v_fma_f16 v96, v97, s6, v96
	v_fma_f16 v32, v97, s6, v32
	;; [unrolled: 1-line block ×3, first 2 shown]
	v_sub_f16_e32 v58, v70, v58
	v_fma_f16 v70, v58, s8, v97
	v_sub_f16_e32 v97, v61, v27
	v_sub_f16_e32 v98, v34, v31
	v_fma_f16 v95, v53, s2, v95
	v_add_f16_e32 v89, v91, v61
	v_add_f16_e32 v97, v97, v98
	v_fma_f16 v95, v58, s3, v95
	v_add_f16_e32 v89, v89, v27
	v_fma_f16 v70, v97, s6, v70
	v_fma_f16 v95, v97, s6, v95
	v_add_f16_e32 v97, v61, v34
	v_add_f16_e32 v89, v89, v31
	v_fma_f16 v91, v97, -0.5, v91
	v_sub_f16_e32 v27, v27, v61
	v_sub_f16_e32 v31, v31, v34
	v_add_f16_e32 v27, v27, v31
	v_fma_f16 v31, v58, s7, v91
	v_fma_f16 v31, v53, s3, v31
	;; [unrolled: 1-line block ×4, first 2 shown]
	v_add_f16_e32 v31, v71, v72
	v_add_f16_e32 v89, v89, v34
	v_fma_f16 v97, v53, s8, v97
	v_fma_f16 v31, v31, -0.5, v30
	v_sub_f16_e32 v34, v59, v35
	v_fma_f16 v61, v27, s6, v97
	v_fma_f16 v53, v34, s2, v31
	v_sub_f16_e32 v91, v60, v33
	v_sub_f16_e32 v97, v57, v71
	;; [unrolled: 1-line block ×3, first 2 shown]
	v_fma_f16 v31, v34, s7, v31
	v_fma_f16 v53, v91, s3, v53
	v_add_f16_e32 v97, v97, v98
	v_fma_f16 v31, v91, s8, v31
	v_fma_f16 v53, v97, s6, v53
	;; [unrolled: 1-line block ×3, first 2 shown]
	v_add_f16_e32 v97, v57, v51
	v_add_f16_e32 v27, v30, v57
	v_fma_f16 v30, v97, -0.5, v30
	v_fma_f16 v97, v91, s7, v30
	v_fma_f16 v30, v91, s2, v30
	;; [unrolled: 1-line block ×4, first 2 shown]
	v_add_f16_e32 v34, v92, v59
	v_add_f16_e32 v34, v34, v60
	;; [unrolled: 1-line block ×5, first 2 shown]
	v_sub_f16_e32 v98, v71, v57
	v_add_f16_e32 v91, v34, v35
	v_add_f16_e32 v34, v60, v33
	;; [unrolled: 1-line block ×4, first 2 shown]
	v_fma_f16 v34, v34, -0.5, v92
	v_sub_f16_e32 v51, v57, v51
	v_fma_f16 v97, v98, s6, v97
	v_fma_f16 v30, v98, s6, v30
	;; [unrolled: 1-line block ×3, first 2 shown]
	v_sub_f16_e32 v71, v71, v72
	v_sub_f16_e32 v72, v59, v60
	;; [unrolled: 1-line block ×3, first 2 shown]
	v_fma_f16 v34, v51, s2, v34
	v_fma_f16 v57, v71, s8, v57
	v_add_f16_e32 v72, v72, v98
	v_fma_f16 v34, v71, s3, v34
	v_fma_f16 v57, v72, s6, v57
	;; [unrolled: 1-line block ×3, first 2 shown]
	v_add_f16_e32 v34, v59, v35
	v_fma_f16 v34, v34, -0.5, v92
	v_fma_f16 v92, v71, s2, v34
	v_sub_f16_e32 v59, v60, v59
	v_sub_f16_e32 v33, v33, v35
	v_fma_f16 v34, v71, s7, v34
	v_add_f16_e32 v33, v59, v33
	v_fma_f16 v34, v51, s3, v34
	v_fma_f16 v60, v33, s6, v34
	v_add_f16_e32 v34, v73, v74
	v_fma_f16 v92, v51, s8, v92
	v_fma_f16 v34, v34, -0.5, v29
	v_sub_f16_e32 v35, v55, v36
	v_fma_f16 v59, v33, s6, v92
	v_fma_f16 v51, v35, s2, v34
	v_sub_f16_e32 v71, v56, v54
	v_sub_f16_e32 v92, v50, v73
	v_sub_f16_e32 v98, v75, v74
	v_fma_f16 v34, v35, s7, v34
	v_fma_f16 v51, v71, s3, v51
	v_add_f16_e32 v92, v92, v98
	v_fma_f16 v34, v71, s8, v34
	v_fma_f16 v51, v92, s6, v51
	;; [unrolled: 1-line block ×3, first 2 shown]
	v_add_f16_e32 v92, v50, v75
	v_add_f16_e32 v33, v29, v50
	v_fma_f16 v29, v92, -0.5, v29
	v_fma_f16 v92, v71, s7, v29
	v_fma_f16 v29, v71, s2, v29
	;; [unrolled: 1-line block ×4, first 2 shown]
	v_add_f16_e32 v35, v93, v55
	v_add_f16_e32 v35, v35, v56
	;; [unrolled: 1-line block ×7, first 2 shown]
	v_sub_f16_e32 v98, v73, v50
	v_sub_f16_e32 v99, v74, v75
	v_fma_f16 v35, v35, -0.5, v93
	v_sub_f16_e32 v50, v50, v75
	v_add_f16_e32 v33, v33, v75
	v_add_f16_e32 v98, v98, v99
	v_fma_f16 v75, v50, s7, v35
	v_sub_f16_e32 v73, v73, v74
	v_fma_f16 v92, v98, s6, v92
	v_fma_f16 v29, v98, s6, v29
	;; [unrolled: 1-line block ×3, first 2 shown]
	v_sub_f16_e32 v75, v55, v56
	v_sub_f16_e32 v98, v36, v54
	v_fma_f16 v35, v50, s2, v35
	v_add_f16_e32 v75, v75, v98
	v_fma_f16 v35, v73, s3, v35
	v_fma_f16 v74, v75, s6, v74
	v_fma_f16 v75, v75, s6, v35
	v_add_f16_e32 v35, v55, v36
	v_fma_f16 v35, v35, -0.5, v93
	v_fma_f16 v93, v73, s2, v35
	v_sub_f16_e32 v55, v56, v55
	v_sub_f16_e32 v36, v54, v36
	v_fma_f16 v35, v73, s7, v35
	v_fma_f16 v93, v50, s8, v93
	v_add_f16_e32 v36, v55, v36
	v_fma_f16 v35, v50, s3, v35
	v_fma_f16 v56, v36, s6, v93
	;; [unrolled: 1-line block ×3, first 2 shown]
	v_add_f16_e32 v36, v76, v77
	v_fma_f16 v36, v36, -0.5, v28
	v_sub_f16_e32 v50, v48, v52
	v_fma_f16 v54, v50, s2, v36
	v_sub_f16_e32 v55, v49, v47
	v_sub_f16_e32 v93, v45, v76
	;; [unrolled: 1-line block ×3, first 2 shown]
	v_fma_f16 v36, v50, s7, v36
	v_fma_f16 v54, v55, s3, v54
	v_add_f16_e32 v93, v93, v98
	v_fma_f16 v36, v55, s8, v36
	v_fma_f16 v54, v93, s6, v54
	;; [unrolled: 1-line block ×3, first 2 shown]
	v_add_f16_e32 v93, v45, v78
	v_add_f16_e32 v35, v28, v45
	v_fma_f16 v28, v93, -0.5, v28
	v_fma_f16 v93, v55, s7, v28
	v_fma_f16 v28, v55, s2, v28
	;; [unrolled: 1-line block ×4, first 2 shown]
	v_add_f16_e32 v50, v26, v48
	v_sub_f16_e32 v98, v76, v45
	v_sub_f16_e32 v99, v77, v78
	v_add_f16_e32 v50, v50, v49
	v_add_f16_e32 v98, v98, v99
	;; [unrolled: 1-line block ×4, first 2 shown]
	v_fma_f16 v93, v98, s6, v93
	v_fma_f16 v28, v98, s6, v28
	v_add_f16_e32 v98, v50, v52
	v_add_f16_e32 v50, v49, v47
	;; [unrolled: 1-line block ×3, first 2 shown]
	v_fma_f16 v50, v50, -0.5, v26
	v_sub_f16_e32 v45, v45, v78
	v_add_f16_e32 v35, v35, v78
	v_fma_f16 v55, v45, s7, v50
	v_sub_f16_e32 v76, v76, v77
	v_sub_f16_e32 v77, v48, v49
	;; [unrolled: 1-line block ×3, first 2 shown]
	v_fma_f16 v50, v45, s2, v50
	v_fma_f16 v55, v76, s8, v55
	v_add_f16_e32 v77, v77, v78
	v_fma_f16 v50, v76, s3, v50
	v_fma_f16 v78, v77, s6, v55
	;; [unrolled: 1-line block ×3, first 2 shown]
	v_add_f16_e32 v50, v48, v52
	v_fma_f16 v26, v50, -0.5, v26
	v_fma_f16 v50, v76, s2, v26
	v_sub_f16_e32 v48, v49, v48
	v_sub_f16_e32 v47, v47, v52
	v_fma_f16 v26, v76, s7, v26
	v_fma_f16 v50, v45, s8, v50
	v_add_f16_e32 v47, v48, v47
	v_fma_f16 v26, v45, s3, v26
	v_add_f16_e32 v45, v80, v81
	v_fma_f16 v99, v47, s6, v50
	v_fma_f16 v76, v47, s6, v26
	v_fma_f16 v45, v45, -0.5, v25
	v_sub_f16_e32 v47, v43, v46
	v_fma_f16 v48, v47, s2, v45
	v_sub_f16_e32 v49, v44, v42
	v_sub_f16_e32 v50, v79, v80
	;; [unrolled: 1-line block ×3, first 2 shown]
	v_fma_f16 v45, v47, s7, v45
	v_fma_f16 v48, v49, s3, v48
	v_add_f16_e32 v50, v50, v52
	v_fma_f16 v45, v49, s8, v45
	v_fma_f16 v48, v50, s6, v48
	;; [unrolled: 1-line block ×3, first 2 shown]
	v_add_f16_e32 v50, v79, v82
	v_add_f16_e32 v26, v25, v79
	v_fma_f16 v25, v50, -0.5, v25
	v_fma_f16 v50, v49, s7, v25
	v_fma_f16 v25, v49, s2, v25
	v_fma_f16 v50, v47, s3, v50
	v_fma_f16 v25, v47, s8, v25
	v_add_f16_e32 v47, v7, v43
	v_add_f16_e32 v47, v47, v44
	;; [unrolled: 1-line block ×3, first 2 shown]
	v_sub_f16_e32 v52, v80, v79
	v_sub_f16_e32 v55, v81, v82
	v_add_f16_e32 v100, v47, v46
	v_add_f16_e32 v47, v44, v42
	;; [unrolled: 1-line block ×3, first 2 shown]
	v_fma_f16 v47, v47, -0.5, v7
	v_sub_f16_e32 v49, v79, v82
	v_add_f16_e32 v26, v26, v80
	v_fma_f16 v50, v52, s6, v50
	v_fma_f16 v25, v52, s6, v25
	;; [unrolled: 1-line block ×3, first 2 shown]
	v_sub_f16_e32 v55, v80, v81
	v_sub_f16_e32 v79, v43, v44
	;; [unrolled: 1-line block ×3, first 2 shown]
	v_fma_f16 v47, v49, s2, v47
	v_fma_f16 v52, v55, s8, v52
	v_add_f16_e32 v79, v79, v80
	v_fma_f16 v47, v55, s3, v47
	v_fma_f16 v80, v79, s6, v52
	;; [unrolled: 1-line block ×3, first 2 shown]
	v_add_f16_e32 v47, v43, v46
	v_fma_f16 v7, v47, -0.5, v7
	v_sub_f16_e32 v43, v44, v43
	v_sub_f16_e32 v42, v42, v46
	v_fma_f16 v47, v55, s2, v7
	v_add_f16_e32 v42, v43, v42
	v_add_f16_e32 v43, v62, v63
	v_fma_f16 v47, v49, s8, v47
	v_fma_f16 v7, v55, s7, v7
	v_fma_f16 v43, v43, -0.5, v24
	v_sub_f16_e32 v44, v41, v38
	v_add_f16_e32 v26, v26, v81
	v_fma_f16 v81, v42, s6, v47
	v_fma_f16 v7, v49, s3, v7
	;; [unrolled: 1-line block ×3, first 2 shown]
	v_sub_f16_e32 v47, v40, v39
	v_sub_f16_e32 v49, v83, v62
	;; [unrolled: 1-line block ×3, first 2 shown]
	v_fma_f16 v43, v44, s7, v43
	v_fma_f16 v46, v47, s3, v46
	v_add_f16_e32 v49, v49, v52
	v_fma_f16 v43, v47, s8, v43
	v_fma_f16 v46, v49, s6, v46
	;; [unrolled: 1-line block ×3, first 2 shown]
	v_add_f16_e32 v49, v83, v64
	v_fma_f16 v7, v42, s6, v7
	v_add_f16_e32 v42, v24, v83
	v_fma_f16 v24, v49, -0.5, v24
	v_fma_f16 v49, v47, s7, v24
	v_fma_f16 v24, v47, s2, v24
	;; [unrolled: 1-line block ×4, first 2 shown]
	v_add_f16_e32 v44, v15, v41
	v_add_f16_e32 v44, v44, v40
	;; [unrolled: 1-line block ×4, first 2 shown]
	v_sub_f16_e32 v52, v62, v83
	v_sub_f16_e32 v55, v63, v64
	v_add_f16_e32 v82, v44, v38
	v_add_f16_e32 v44, v40, v39
	;; [unrolled: 1-line block ×4, first 2 shown]
	v_fma_f16 v44, v44, -0.5, v15
	v_sub_f16_e32 v47, v83, v64
	v_add_f16_e32 v42, v42, v63
	v_fma_f16 v49, v52, s6, v49
	v_fma_f16 v24, v52, s6, v24
	;; [unrolled: 1-line block ×3, first 2 shown]
	v_sub_f16_e32 v55, v62, v63
	v_sub_f16_e32 v62, v41, v40
	;; [unrolled: 1-line block ×3, first 2 shown]
	v_fma_f16 v44, v47, s2, v44
	v_fma_f16 v52, v55, s8, v52
	v_add_f16_e32 v62, v62, v63
	v_fma_f16 v44, v55, s3, v44
	v_fma_f16 v63, v62, s6, v52
	;; [unrolled: 1-line block ×3, first 2 shown]
	v_add_f16_e32 v44, v41, v38
	v_fma_f16 v15, v44, -0.5, v15
	v_fma_f16 v44, v55, s2, v15
	v_sub_f16_e32 v40, v40, v41
	v_sub_f16_e32 v38, v39, v38
	v_fma_f16 v15, v55, s7, v15
	v_add_f16_e32 v38, v40, v38
	v_fma_f16 v15, v47, s3, v15
	v_fma_f16 v83, v38, s6, v15
	v_mov_b32_e32 v15, 0x302
	v_cndmask_b32_e32 v15, 0, v15, vcc
	v_add3_u32 v0, 0, v15, v0
	v_mov_b32_e32 v15, 1
	v_lshlrev_b32_sdwa v2, v15, v2 dst_sel:DWORD dst_unused:UNUSED_PAD src0_sel:DWORD src1_sel:BYTE_0
	v_add_f16_e32 v65, v65, v117
	v_add3_u32 v1, 0, v1, v2
	v_lshl_add_u32 v2, v3, 1, 0
	v_mul_u32_u24_e32 v3, 0x302, v5
	v_lshlrev_b32_e32 v5, 1, v6
	v_add_f16_e32 v65, v65, v106
	v_add3_u32 v3, 0, v3, v5
	v_mul_u32_u24_e32 v5, 0x302, v8
	v_lshlrev_b32_e32 v6, 1, v14
	v_add_f16_e32 v65, v65, v108
	v_add_f16_e32 v42, v42, v64
	v_fma_f16 v44, v47, s8, v44
	v_add3_u32 v5, 0, v5, v6
	v_lshl_add_u32 v6, v23, 1, 0
	v_fma_f16 v64, v38, s6, v44
	ds_write_b16 v17, v65
	ds_write_b16 v17, v86 offset:154
	ds_write_b16 v17, v88 offset:308
	ds_write_b16 v17, v37 offset:462
	ds_write_b16 v17, v84 offset:616
	ds_write_b16 v0, v68
	ds_write_b16 v0, v90 offset:154
	ds_write_b16 v0, v96 offset:308
	ds_write_b16 v0, v32 offset:462
	ds_write_b16 v0, v69 offset:616
	ds_write_b16 v1, v27
	ds_write_b16 v1, v53 offset:154
	ds_write_b16 v1, v97 offset:308
	ds_write_b16 v1, v30 offset:462
	ds_write_b16 v1, v31 offset:616
	ds_write_b16 v2, v33 offset:1540
	ds_write_b16 v2, v51 offset:1694
	;; [unrolled: 1-line block ×5, first 2 shown]
	ds_write_b16 v3, v35
	ds_write_b16 v3, v54 offset:154
	ds_write_b16 v3, v93 offset:308
	;; [unrolled: 1-line block ×4, first 2 shown]
	ds_write_b16 v5, v26
	ds_write_b16 v5, v48 offset:154
	ds_write_b16 v5, v50 offset:308
	;; [unrolled: 1-line block ×9, first 2 shown]
	s_waitcnt lgkmcnt(0)
	; wave barrier
	s_waitcnt lgkmcnt(0)
	ds_read_u16 v28, v17 offset:1650
	ds_read_u16 v27, v17 offset:2420
	;; [unrolled: 1-line block ×6, first 2 shown]
	ds_read_u16 v14, v17
	ds_read_u16 v26, v17 offset:110
	ds_read_u16 v31, v17 offset:220
	;; [unrolled: 1-line block ×28, first 2 shown]
	s_waitcnt lgkmcnt(0)
	; wave barrier
	s_waitcnt lgkmcnt(0)
	ds_write_b16 v17, v85
	ds_write_b16 v17, v94 offset:154
	ds_write_b16 v17, v67 offset:308
	ds_write_b16 v17, v66 offset:462
	ds_write_b16 v17, v87 offset:616
	ds_write_b16 v0, v89
	ds_write_b16 v0, v70 offset:154
	ds_write_b16 v0, v61 offset:308
	ds_write_b16 v0, v58 offset:462
	ds_write_b16 v0, v95 offset:616
	;; [unrolled: 5-line block ×3, first 2 shown]
	ds_write_b16 v2, v71 offset:1540
	ds_write_b16 v2, v74 offset:1694
	;; [unrolled: 1-line block ×5, first 2 shown]
	ds_write_b16 v3, v98
	ds_write_b16 v3, v78 offset:154
	ds_write_b16 v3, v99 offset:308
	;; [unrolled: 1-line block ×4, first 2 shown]
	ds_write_b16 v5, v100
	ds_write_b16 v5, v80 offset:154
	ds_write_b16 v5, v81 offset:308
	ds_write_b16 v5, v7 offset:462
	ds_write_b16 v5, v79 offset:616
	ds_write_b16 v6, v82 offset:3080
	ds_write_b16 v6, v63 offset:3234
	ds_write_b16 v6, v64 offset:3388
	ds_write_b16 v6, v83 offset:3542
	ds_write_b16 v6, v62 offset:3696
	s_waitcnt lgkmcnt(0)
	; wave barrier
	s_waitcnt lgkmcnt(0)
	s_and_saveexec_b64 s[10:11], s[0:1]
	s_cbranch_execz .LBB0_21
; %bb.20:
	v_lshlrev_b32_e32 v8, 2, v12
	v_lshl_add_u64 v[0:1], v[8:9], 2, s[4:5]
	global_load_dwordx4 v[0:3], v[0:1], off offset:1512
	v_lshlrev_b32_e32 v8, 2, v4
	ds_read_u16 v57, v17 offset:1650
	ds_read_u16 v56, v17 offset:1540
	ds_read_u16 v61, v17 offset:1430
	ds_read_u16 v70, v17 offset:1320
	ds_read_u16 v71, v17 offset:2530
	ds_read_u16 v72, v17 offset:2420
	ds_read_u16 v58, v17 offset:2310
	ds_read_u16 v68, v17 offset:2200
	ds_read_u16 v73, v17 offset:2090
	ds_read_u16 v69, v17 offset:3740
	ds_read_u16 v74, v17 offset:3630
	ds_read_u16 v75, v17 offset:3410
	ds_read_u16 v76, v17 offset:3300
	ds_read_u16 v77, v17 offset:3190
	ds_read_u16 v59, v17 offset:3080
	ds_read_u16 v78, v17 offset:2970
	ds_read_u16 v79, v17 offset:2860
	ds_read_u16 v60, v17 offset:770
	ds_read_u16 v80, v17 offset:660
	ds_read_u16 v81, v17 offset:550
	v_lshl_add_u64 v[66:67], v[8:9], 2, s[4:5]
	global_load_dwordx4 v[4:7], v[10:11], off offset:1512
	global_load_dwordx4 v[62:65], v[66:67], off offset:1512
	s_movk_i32 s0, 0x1000
	s_mov_b32 s1, 0x551c979b
	s_waitcnt vmcnt(2)
	v_lshrrev_b32_e32 v8, 16, v0
	v_lshrrev_b32_e32 v10, 16, v1
	;; [unrolled: 1-line block ×4, first 2 shown]
	s_waitcnt lgkmcnt(14)
	v_mul_f16_e32 v67, v0, v61
	s_waitcnt lgkmcnt(12)
	v_mul_f16_e32 v82, v1, v68
	;; [unrolled: 2-line block ×4, first 2 shown]
	v_fma_f16 v67, v52, v8, v67
	v_fma_f16 v82, v53, v10, v82
	v_fma_f16 v83, v55, v66, v83
	v_fma_f16 v84, v54, v11, v84
	v_mul_f16_e32 v10, v10, v68
	v_mul_f16_e32 v11, v11, v78
	;; [unrolled: 1-line block ×4, first 2 shown]
	v_sub_f16_e32 v66, v67, v82
	v_sub_f16_e32 v68, v83, v84
	v_fma_f16 v53, v53, v1, -v10
	v_fma_f16 v54, v54, v2, -v11
	;; [unrolled: 1-line block ×4, first 2 shown]
	v_add_f16_e32 v0, v82, v84
	v_sub_f16_e32 v1, v82, v67
	v_sub_f16_e32 v2, v84, v83
	v_add_f16_e32 v3, v67, v83
	v_add_f16_e32 v66, v66, v68
	v_sub_f16_e32 v68, v8, v55
	s_waitcnt lgkmcnt(1)
	v_fma_f16 v78, v0, -0.5, v80
	v_sub_f16_e32 v0, v8, v53
	v_add_f16_e32 v1, v1, v2
	v_fma_f16 v2, v3, -0.5, v80
	v_sub_f16_e32 v3, v53, v8
	v_add_f16_e32 v85, v8, v55
	v_add_f16_e32 v8, v51, v8
	;; [unrolled: 1-line block ×5, first 2 shown]
	v_sub_f16_e32 v80, v54, v55
	v_add_f16_e32 v8, v8, v54
	v_sub_f16_e32 v61, v67, v83
	v_sub_f16_e32 v67, v53, v54
	v_fma_f16 v88, v11, -0.5, v51
	v_add_f16_e32 v11, v3, v80
	v_fma_f16 v3, v85, -0.5, v51
	v_add_f16_e32 v51, v55, v8
	v_fma_f16 v8, v68, s7, v78
	v_fma_f16 v8, v67, s8, v8
	v_sub_f16_e32 v69, v82, v84
	v_sub_f16_e32 v10, v55, v54
	v_fma_f16 v53, v66, s6, v8
	v_fma_f16 v8, v61, s2, v88
	;; [unrolled: 1-line block ×3, first 2 shown]
	v_add_f16_e32 v87, v0, v10
	v_fma_f16 v8, v69, s3, v8
	v_fma_f16 v0, v67, s7, v2
	;; [unrolled: 1-line block ×3, first 2 shown]
	v_add_f16_e32 v52, v82, v52
	v_fma_f16 v54, v87, s6, v8
	v_lshlrev_b32_e32 v8, 2, v13
	v_fma_f16 v2, v67, s2, v2
	v_fma_f16 v80, v61, s7, v88
	;; [unrolled: 1-line block ×6, first 2 shown]
	v_add_f16_e32 v52, v84, v52
	v_lshl_add_u64 v[66:67], v[8:9], 2, s[4:5]
	s_waitcnt vmcnt(0)
	v_lshrrev_b32_e32 v8, 16, v62
	v_lshrrev_b32_e32 v55, 16, v63
	v_mul_f16_e32 v82, v62, v70
	v_mul_f16_e32 v84, v63, v73
	v_fma_f16 v89, v68, s8, v2
	v_fma_f16 v10, v69, s8, v80
	;; [unrolled: 1-line block ×5, first 2 shown]
	v_lshrrev_b32_e32 v61, 16, v64
	v_lshrrev_b32_e32 v78, 16, v65
	v_fma_f16 v82, v47, v8, v82
	v_fma_f16 v84, v48, v55, v84
	v_mul_f16_e32 v55, v55, v73
	v_mul_f16_e32 v8, v8, v70
	v_fma_f16 v3, v1, s6, v89
	v_fma_f16 v1, v87, s6, v10
	v_mul_f16_e32 v87, v65, v74
	v_mul_f16_e32 v89, v64, v79
	v_fma_f16 v55, v48, v63, -v55
	v_mul_f16_e32 v48, v61, v79
	v_fma_f16 v8, v47, v62, -v8
	v_mul_f16_e32 v47, v78, v74
	v_fma_f16 v87, v50, v78, v87
	v_fma_f16 v89, v49, v61, v89
	v_fma_f16 v61, v49, v64, -v48
	v_fma_f16 v50, v50, v65, -v47
	v_sub_f16_e32 v48, v8, v55
	v_sub_f16_e32 v49, v50, v61
	v_add_f16_e32 v65, v48, v49
	v_sub_f16_e32 v49, v84, v82
	v_sub_f16_e32 v79, v89, v87
	v_fma_f16 v10, v11, s6, v80
	v_fma_f16 v11, v11, s6, v85
	v_sub_f16_e32 v85, v82, v84
	v_sub_f16_e32 v90, v87, v89
	v_add_f16_e32 v79, v49, v79
	v_add_f16_e32 v49, v82, v87
	;; [unrolled: 1-line block ×3, first 2 shown]
	v_sub_f16_e32 v63, v55, v61
	v_add_f16_e32 v47, v84, v89
	s_waitcnt lgkmcnt(0)
	v_fma_f16 v90, v49, -0.5, v81
	global_load_dwordx4 v[66:69], v[66:67], off offset:1512
	v_sub_f16_e32 v62, v8, v50
	v_fma_f16 v64, v47, -0.5, v81
	v_fma_f16 v49, v63, s7, v90
	v_fma_f16 v90, v63, s2, v90
	;; [unrolled: 1-line block ×3, first 2 shown]
	v_add_f16_e32 v48, v55, v61
	v_fma_f16 v49, v62, s3, v49
	v_fma_f16 v90, v62, s8, v90
	;; [unrolled: 1-line block ×4, first 2 shown]
	v_fma_f16 v73, v48, -0.5, v46
	v_sub_f16_e32 v74, v82, v87
	v_fma_f16 v62, v63, s8, v62
	v_fma_f16 v47, v85, s6, v47
	v_sub_f16_e32 v78, v84, v89
	v_sub_f16_e32 v91, v55, v8
	;; [unrolled: 1-line block ×3, first 2 shown]
	v_fma_f16 v85, v85, s6, v62
	v_fma_f16 v62, v74, s2, v73
	v_add_f16_e32 v91, v91, v92
	v_add_f16_e32 v92, v8, v50
	v_fma_f16 v62, v78, s3, v62
	v_add_f16_e32 v8, v46, v8
	v_fma_f16 v48, v74, s7, v73
	v_fma_f16 v73, v65, s6, v62
	v_add_f16_e32 v62, v82, v81
	v_add_f16_e32 v8, v8, v55
	v_fma_f16 v92, v92, -0.5, v46
	v_add_f16_e32 v62, v84, v62
	v_add_f16_e32 v8, v8, v61
	v_fma_f16 v49, v79, s6, v49
	v_fma_f16 v93, v78, s2, v92
	;; [unrolled: 1-line block ×4, first 2 shown]
	v_add_f16_e32 v62, v89, v62
	v_add_f16_e32 v46, v50, v8
	v_lshlrev_b32_e32 v8, 2, v22
	v_fma_f16 v48, v78, s8, v48
	v_fma_f16 v93, v74, s8, v93
	v_fma_f16 v90, v74, s3, v90
	v_add_f16_e32 v74, v87, v62
	v_lshl_add_u64 v[62:63], v[8:9], 2, s[4:5]
	v_fma_f16 v48, v65, s6, v48
	global_load_dwordx4 v[62:65], v[62:63], off offset:1512
	v_add_f16_e32 v52, v83, v52
	ds_read_u16 v80, v17 offset:1210
	ds_read_u16 v81, v17 offset:1870
	;; [unrolled: 1-line block ×8, first 2 shown]
	v_fma_f16 v93, v91, s6, v93
	v_fma_f16 v90, v91, s6, v90
	v_pack_b32_f16 v3, v11, v3
	v_pack_b32_f16 v0, v1, v0
	s_waitcnt vmcnt(1)
	v_lshrrev_b32_e32 v50, 16, v66
	v_lshrrev_b32_e32 v55, 16, v67
	v_lshrrev_b32_e32 v61, 16, v68
	v_lshrrev_b32_e32 v78, 16, v69
	s_waitcnt lgkmcnt(7)
	v_mul_f16_e32 v8, v66, v80
	s_waitcnt lgkmcnt(5)
	v_mul_f16_e32 v82, v67, v83
	;; [unrolled: 2-line block ×4, first 2 shown]
	v_fma_f16 v8, v42, v50, v8
	v_fma_f16 v82, v43, v55, v82
	;; [unrolled: 1-line block ×4, first 2 shown]
	v_mul_f16_e32 v55, v55, v83
	v_mul_f16_e32 v50, v50, v80
	v_fma_f16 v43, v43, v67, -v55
	v_mul_f16_e32 v55, v61, v88
	v_fma_f16 v42, v42, v66, -v50
	v_mul_f16_e32 v50, v78, v86
	v_sub_f16_e32 v86, v82, v8
	v_sub_f16_e32 v88, v91, v87
	;; [unrolled: 1-line block ×3, first 2 shown]
	v_fma_f16 v44, v44, v68, -v55
	ds_read_u16 v66, v17 offset:330
	v_sub_f16_e32 v78, v8, v87
	v_add_f16_e32 v86, v86, v88
	v_add_f16_e32 v88, v8, v87
	s_waitcnt lgkmcnt(2)
	v_add_f16_e32 v8, v8, v70
	v_sub_f16_e32 v92, v87, v91
	v_sub_f16_e32 v55, v43, v44
	v_fma_f16 v45, v45, v69, -v50
	v_add_f16_e32 v61, v82, v91
	v_fma_f16 v88, v88, -0.5, v70
	v_add_f16_e32 v8, v82, v8
	v_add_f16_e32 v84, v84, v92
	v_sub_f16_e32 v50, v42, v45
	v_fma_f16 v61, v61, -0.5, v70
	v_sub_f16_e32 v68, v42, v43
	v_sub_f16_e32 v69, v45, v44
	v_fma_f16 v92, v55, s7, v88
	v_sub_f16_e32 v94, v43, v42
	v_sub_f16_e32 v95, v44, v45
	v_fma_f16 v88, v55, s2, v88
	v_add_f16_e32 v8, v91, v8
	v_fma_f16 v67, v50, s2, v61
	v_add_f16_e32 v68, v68, v69
	v_add_f16_e32 v69, v43, v44
	v_fma_f16 v92, v50, s3, v92
	v_add_f16_e32 v94, v94, v95
	v_add_f16_e32 v95, v42, v45
	v_fma_f16 v88, v50, s8, v88
	v_fma_f16 v50, v50, s7, v61
	v_add_f16_e32 v61, v87, v8
	v_add_f16_e32 v8, v41, v42
	v_fma_f16 v69, v69, -0.5, v41
	v_sub_f16_e32 v83, v82, v91
	v_fma_f16 v95, v95, -0.5, v41
	v_add_f16_e32 v8, v8, v43
	v_fma_f16 v67, v55, s3, v67
	v_fma_f16 v80, v78, s7, v69
	;; [unrolled: 1-line block ×8, first 2 shown]
	v_add_f16_e32 v8, v8, v44
	v_fma_f16 v80, v83, s8, v80
	v_fma_f16 v96, v78, s8, v96
	;; [unrolled: 1-line block ×4, first 2 shown]
	v_add_f16_e32 v41, v45, v8
	v_lshlrev_b32_e32 v8, 2, v21
	s_waitcnt vmcnt(0)
	v_lshrrev_b32_e32 v21, 16, v63
	v_mul_f16_e32 v78, v63, v81
	v_fma_f16 v80, v68, s6, v80
	v_fma_f16 v55, v68, s6, v55
	v_lshl_add_u64 v[42:43], v[8:9], 2, s[4:5]
	v_lshrrev_b32_e32 v8, 16, v62
	v_lshrrev_b32_e32 v68, 16, v64
	;; [unrolled: 1-line block ×3, first 2 shown]
	v_fma_f16 v78, v38, v21, v78
	s_waitcnt lgkmcnt(1)
	v_mul_f16_e32 v83, v62, v22
	v_mul_f16_e32 v21, v21, v81
	ds_read_u16 v70, v17 offset:1760
	ds_read_u16 v82, v17 offset:990
	v_fma_f16 v83, v40, v8, v83
	v_mul_f16_e32 v8, v8, v22
	v_mul_f16_e32 v22, v69, v75
	v_fma_f16 v21, v38, v63, -v21
	v_mul_f16_e32 v38, v68, v89
	v_fma_f16 v8, v40, v62, -v8
	v_fma_f16 v22, v37, v65, -v22
	;; [unrolled: 1-line block ×3, first 2 shown]
	v_mul_f16_e32 v87, v64, v89
	v_mul_f16_e32 v91, v65, v75
	v_sub_f16_e32 v64, v21, v8
	v_sub_f16_e32 v65, v38, v22
	v_fma_f16 v91, v37, v69, v91
	v_sub_f16_e32 v37, v8, v22
	v_add_f16_e32 v64, v64, v65
	v_add_f16_e32 v65, v8, v22
	v_sub_f16_e32 v95, v8, v21
	v_add_f16_e32 v8, v36, v8
	v_fma_f16 v87, v39, v68, v87
	v_add_f16_e32 v40, v83, v91
	v_add_f16_e32 v8, v21, v8
	ds_read_u16 v62, v17 offset:220
	s_waitcnt lgkmcnt(3)
	v_fma_f16 v40, v40, -0.5, v66
	v_sub_f16_e32 v39, v21, v38
	v_sub_f16_e32 v81, v83, v78
	;; [unrolled: 1-line block ×3, first 2 shown]
	v_add_f16_e32 v8, v8, v38
	v_fma_f16 v67, v84, s6, v67
	v_fma_f16 v96, v94, s6, v96
	;; [unrolled: 1-line block ×4, first 2 shown]
	global_load_dwordx4 v[42:45], v[42:43], off offset:1512
	v_sub_f16_e32 v84, v78, v83
	v_sub_f16_e32 v94, v87, v91
	v_add_f16_e32 v81, v81, v89
	v_add_f16_e32 v89, v78, v87
	v_sub_f16_e32 v97, v22, v38
	v_add_f16_e32 v22, v8, v22
	v_fma_f16 v8, v39, s2, v40
	v_add_f16_e32 v84, v84, v94
	v_fma_f16 v89, v89, -0.5, v66
	v_fma_f16 v8, v37, s8, v8
	v_fma_f16 v63, v39, s7, v40
	;; [unrolled: 1-line block ×4, first 2 shown]
	v_fma_f16 v65, v65, -0.5, v36
	v_sub_f16_e32 v68, v78, v87
	v_add_f16_e32 v66, v83, v66
	v_fma_f16 v8, v39, s3, v8
	v_fma_f16 v69, v68, s2, v65
	v_sub_f16_e32 v75, v83, v91
	v_add_f16_e32 v95, v95, v97
	v_add_f16_e32 v97, v21, v38
	;; [unrolled: 1-line block ×3, first 2 shown]
	v_fma_f16 v78, v81, s6, v8
	v_fma_f16 v8, v68, s7, v65
	;; [unrolled: 1-line block ×3, first 2 shown]
	v_fma_f16 v97, v97, -0.5, v36
	v_fma_f16 v8, v75, s3, v8
	v_fma_f16 v69, v64, s6, v69
	;; [unrolled: 1-line block ×5, first 2 shown]
	v_lshlrev_b32_e32 v8, 2, v20
	v_fma_f16 v94, v37, s7, v89
	v_lshl_add_u64 v[20:21], v[8:9], 2, s[4:5]
	v_fma_f16 v63, v37, s3, v63
	v_fma_f16 v94, v39, s8, v94
	global_load_dwordx4 v[36:39], v[20:21], off offset:1512
	v_fma_f16 v98, v75, s2, v97
	v_fma_f16 v94, v81, s6, v94
	;; [unrolled: 1-line block ×3, first 2 shown]
	v_add_f16_e32 v66, v87, v66
	v_fma_f16 v8, v95, s6, v65
	ds_read_u16 v75, v17 offset:880
	v_fma_f16 v63, v84, s6, v63
	v_add_f16_e32 v66, v91, v66
	v_fma_f16 v98, v95, s6, v98
	v_pack_b32_f16 v8, v8, v78
	s_waitcnt vmcnt(1)
	v_lshrrev_b32_e32 v20, 16, v42
	v_lshrrev_b32_e32 v21, 16, v43
	;; [unrolled: 1-line block ×4, first 2 shown]
	s_waitcnt lgkmcnt(2)
	v_mul_f16_e32 v81, v42, v82
	v_mul_f16_e32 v83, v43, v70
	;; [unrolled: 1-line block ×4, first 2 shown]
	v_fma_f16 v81, v34, v20, v81
	v_fma_f16 v83, v35, v21, v83
	;; [unrolled: 1-line block ×4, first 2 shown]
	v_mul_f16_e32 v21, v21, v70
	v_mul_f16_e32 v20, v20, v82
	v_fma_f16 v21, v35, v43, -v21
	v_mul_f16_e32 v35, v65, v71
	v_fma_f16 v20, v34, v42, -v20
	v_mul_f16_e32 v34, v68, v76
	v_sub_f16_e32 v76, v83, v81
	v_sub_f16_e32 v82, v89, v87
	v_fma_f16 v33, v33, v44, -v35
	v_fma_f16 v32, v32, v45, -v34
	v_add_f16_e32 v76, v76, v82
	v_add_f16_e32 v82, v81, v87
	v_sub_f16_e32 v84, v81, v83
	v_sub_f16_e32 v91, v87, v89
	v_sub_f16_e32 v35, v21, v33
	v_add_f16_e32 v42, v83, v89
	ds_read_u16 v43, v17 offset:110
	v_sub_f16_e32 v45, v20, v21
	v_sub_f16_e32 v65, v32, v33
	s_waitcnt lgkmcnt(2)
	v_fma_f16 v82, v82, -0.5, v62
	v_add_f16_e32 v84, v84, v91
	v_sub_f16_e32 v34, v20, v32
	v_fma_f16 v42, v42, -0.5, v62
	v_add_f16_e32 v45, v45, v65
	v_add_f16_e32 v65, v21, v33
	v_fma_f16 v91, v35, s7, v82
	v_fma_f16 v82, v35, s2, v82
	;; [unrolled: 1-line block ×3, first 2 shown]
	v_fma_f16 v65, v65, -0.5, v31
	v_sub_f16_e32 v68, v81, v87
	v_fma_f16 v91, v34, s3, v91
	v_sub_f16_e32 v95, v21, v20
	v_sub_f16_e32 v97, v33, v32
	v_fma_f16 v82, v34, s8, v82
	v_fma_f16 v34, v34, s7, v42
	;; [unrolled: 1-line block ×4, first 2 shown]
	v_sub_f16_e32 v71, v83, v89
	v_add_f16_e32 v95, v95, v97
	v_add_f16_e32 v97, v20, v32
	v_fma_f16 v34, v35, s8, v34
	v_fma_f16 v35, v68, s2, v65
	v_add_f16_e32 v20, v31, v20
	v_fma_f16 v70, v71, s8, v70
	v_fma_f16 v97, v97, -0.5, v31
	v_fma_f16 v35, v71, s3, v35
	v_add_f16_e32 v20, v20, v21
	v_fma_f16 v70, v45, s6, v70
	v_fma_f16 v91, v76, s6, v91
	;; [unrolled: 1-line block ×6, first 2 shown]
	v_add_f16_e32 v42, v81, v62
	v_add_f16_e32 v20, v20, v33
	s_waitcnt vmcnt(0)
	v_lshrrev_b32_e32 v21, 16, v36
	v_lshrrev_b32_e32 v31, 16, v37
	s_waitcnt lgkmcnt(1)
	v_mul_f16_e32 v45, v36, v75
	v_mul_f16_e32 v62, v37, v57
	v_fma_f16 v99, v68, s8, v99
	v_fma_f16 v82, v68, s3, v82
	v_add_f16_e32 v20, v32, v20
	v_lshrrev_b32_e32 v32, 16, v38
	v_lshrrev_b32_e32 v33, 16, v39
	v_fma_f16 v45, v30, v21, v45
	v_fma_f16 v62, v28, v31, v62
	v_mul_f16_e32 v68, v39, v77
	v_mul_f16_e32 v71, v38, v72
	;; [unrolled: 1-line block ×4, first 2 shown]
	v_fma_f16 v68, v29, v33, v68
	v_fma_f16 v71, v27, v32, v71
	v_fma_f16 v28, v28, v37, -v31
	v_mul_f16_e32 v31, v32, v72
	v_fma_f16 v21, v30, v36, -v21
	v_mul_f16_e32 v30, v33, v77
	v_sub_f16_e32 v65, v45, v62
	v_sub_f16_e32 v81, v68, v71
	v_fma_f16 v27, v27, v38, -v31
	v_fma_f16 v29, v29, v39, -v30
	v_add_f16_e32 v42, v83, v42
	v_add_f16_e32 v65, v65, v81
	v_sub_f16_e32 v36, v21, v28
	v_sub_f16_e32 v37, v29, v27
	;; [unrolled: 1-line block ×5, first 2 shown]
	v_add_f16_e32 v36, v36, v37
	v_add_f16_e32 v37, v28, v27
	v_sub_f16_e32 v72, v62, v45
	v_sub_f16_e32 v75, v71, v68
	v_add_f16_e32 v81, v81, v83
	v_add_f16_e32 v83, v21, v29
	;; [unrolled: 1-line block ×3, first 2 shown]
	v_fma_f16 v37, v37, -0.5, v26
	v_sub_f16_e32 v38, v45, v68
	v_add_f16_e32 v72, v72, v75
	v_add_f16_e32 v75, v45, v68
	;; [unrolled: 1-line block ×3, first 2 shown]
	v_sub_f16_e32 v31, v28, v27
	v_fma_f16 v39, v38, s7, v37
	v_sub_f16_e32 v57, v62, v71
	s_waitcnt lgkmcnt(0)
	v_fma_f16 v75, v75, -0.5, v43
	v_add_f16_e32 v21, v21, v27
	v_fma_f16 v27, v38, s2, v37
	v_add_f16_e32 v32, v62, v71
	v_fma_f16 v39, v57, s8, v39
	v_fma_f16 v77, v31, s7, v75
	;; [unrolled: 1-line block ×4, first 2 shown]
	v_fma_f16 v32, v32, -0.5, v43
	v_fma_f16 v39, v36, s6, v39
	v_fma_f16 v77, v30, s3, v77
	v_fma_f16 v83, v83, -0.5, v26
	v_fma_f16 v75, v30, s8, v75
	v_add_f16_e32 v21, v29, v21
	v_fma_f16 v27, v36, s6, v27
	v_lshrrev_b32_e32 v29, 16, v5
	v_mul_f16_e32 v36, v5, v56
	v_fma_f16 v44, v84, s6, v44
	v_fma_f16 v34, v84, s6, v34
	v_fma_f16 v33, v30, s2, v32
	v_fma_f16 v77, v72, s6, v77
	v_fma_f16 v84, v57, s2, v83
	v_fma_f16 v72, v72, s6, v75
	v_fma_f16 v75, v57, s7, v83
	v_fma_f16 v26, v30, s7, v32
	v_lshrrev_b32_e32 v30, 16, v6
	v_fma_f16 v36, v24, v29, v36
	v_mul_f16_e32 v29, v29, v56
	ds_read_u16 v17, v17
	v_fma_f16 v33, v31, s3, v33
	v_fma_f16 v84, v38, s8, v84
	;; [unrolled: 1-line block ×3, first 2 shown]
	v_add_f16_e32 v43, v45, v43
	v_fma_f16 v26, v31, s8, v26
	v_lshrrev_b32_e32 v28, 16, v4
	v_lshrrev_b32_e32 v31, 16, v7
	v_mul_f16_e32 v32, v4, v60
	v_mul_f16_e32 v38, v7, v59
	;; [unrolled: 1-line block ×3, first 2 shown]
	v_fma_f16 v5, v24, v5, -v29
	v_mul_f16_e32 v24, v30, v58
	v_fma_f16 v32, v15, v28, v32
	v_fma_f16 v38, v23, v31, v38
	;; [unrolled: 1-line block ×3, first 2 shown]
	v_fma_f16 v6, v25, v6, -v24
	v_mul_f16_e32 v25, v28, v60
	v_sub_f16_e32 v37, v32, v36
	v_sub_f16_e32 v57, v38, v45
	v_fma_f16 v4, v15, v4, -v25
	v_mul_f16_e32 v15, v31, v59
	v_add_f16_e32 v37, v37, v57
	v_fma_f16 v7, v23, v7, -v15
	v_sub_f16_e32 v57, v36, v32
	v_sub_f16_e32 v58, v45, v38
	v_add_f16_e32 v43, v62, v43
	v_add_f16_e32 v23, v36, v45
	v_sub_f16_e32 v28, v4, v5
	v_sub_f16_e32 v29, v7, v6
	v_add_f16_e32 v57, v57, v58
	v_add_f16_e32 v58, v32, v38
	v_sub_f16_e32 v60, v5, v4
	v_sub_f16_e32 v62, v6, v7
	;; [unrolled: 1-line block ×4, first 2 shown]
	s_waitcnt lgkmcnt(0)
	v_fma_f16 v23, v23, -0.5, v17
	v_add_f16_e32 v28, v28, v29
	v_add_f16_e32 v29, v5, v6
	v_fma_f16 v58, v58, -0.5, v17
	v_add_f16_e32 v60, v60, v62
	v_add_f16_e32 v62, v4, v7
	;; [unrolled: 1-line block ×4, first 2 shown]
	v_fma_f16 v29, v29, -0.5, v14
	v_sub_f16_e32 v30, v32, v38
	v_fma_f16 v59, v24, s7, v58
	v_fma_f16 v58, v24, s2, v58
	v_add_f16_e32 v17, v36, v17
	v_add_f16_e32 v4, v4, v5
	v_fma_f16 v25, v15, s2, v23
	v_sub_f16_e32 v56, v36, v45
	v_fma_f16 v59, v15, s3, v59
	v_fma_f16 v62, v62, -0.5, v14
	v_fma_f16 v58, v15, s8, v58
	v_fma_f16 v15, v15, s7, v23
	;; [unrolled: 1-line block ×3, first 2 shown]
	v_add_f16_e32 v17, v45, v17
	v_add_f16_e32 v4, v4, v6
	v_fma_f16 v25, v24, s3, v25
	v_fma_f16 v59, v57, s6, v59
	;; [unrolled: 1-line block ×6, first 2 shown]
	v_add_f16_e32 v24, v38, v17
	v_add_f16_e32 v6, v7, v4
	v_mov_b32_e32 v17, v9
	v_fma_f16 v58, v30, s3, v58
	v_fma_f16 v15, v37, s6, v15
	;; [unrolled: 1-line block ×3, first 2 shown]
	v_lshl_add_u64 v[4:5], v[16:17], 2, v[18:19]
	v_pack_b32_f16 v6, v6, v24
	v_fma_f16 v33, v65, s6, v33
	v_fma_f16 v26, v65, s6, v26
	;; [unrolled: 1-line block ×4, first 2 shown]
	global_store_dword v[4:5], v6, off
	v_pack_b32_f16 v6, v23, v15
	v_fma_f16 v31, v30, s7, v29
	v_fma_f16 v65, v30, s8, v65
	global_store_dword v[4:5], v6, off offset:1540
	v_pack_b32_f16 v6, v58, v57
	v_fma_f16 v31, v56, s8, v31
	v_fma_f16 v65, v60, s6, v65
	global_store_dword v[4:5], v6, off offset:3080
	v_add_co_u32_e32 v6, vcc, s0, v4
	v_add_f16_e32 v43, v71, v43
	v_fma_f16 v25, v37, s6, v25
	v_fma_f16 v31, v28, s6, v31
	v_pack_b32_f16 v14, v65, v59
	v_addc_co_u32_e32 v7, vcc, 0, v5, vcc
	v_add_f16_e32 v43, v68, v43
	global_store_dword v[6:7], v14, off offset:524
	v_pack_b32_f16 v14, v31, v25
	global_store_dword v[6:7], v14, off offset:2064
	v_pack_b32_f16 v14, v21, v43
	v_fma_f16 v75, v81, s6, v75
	global_store_dword v[4:5], v14, off offset:220
	v_pack_b32_f16 v14, v27, v26
	v_fma_f16 v84, v81, s6, v84
	global_store_dword v[4:5], v14, off offset:1760
	v_pack_b32_f16 v14, v75, v72
	v_add_f16_e32 v42, v89, v42
	global_store_dword v[4:5], v14, off offset:3300
	v_pack_b32_f16 v14, v84, v77
	v_add_f16_e32 v42, v87, v42
	global_store_dword v[6:7], v14, off offset:744
	v_pack_b32_f16 v14, v39, v33
	global_store_dword v[6:7], v14, off offset:2284
	v_pack_b32_f16 v14, v20, v42
	v_fma_f16 v82, v95, s6, v82
	global_store_dword v[4:5], v14, off offset:440
	v_pack_b32_f16 v14, v35, v34
	v_fma_f16 v99, v95, s6, v99
	global_store_dword v[4:5], v14, off offset:1980
	v_pack_b32_f16 v14, v82, v76
	global_store_dword v[4:5], v14, off offset:3520
	v_pack_b32_f16 v14, v99, v91
	;; [unrolled: 2-line block ×5, first 2 shown]
	global_store_dword v[6:7], v8, off offset:2724
	v_mul_hi_u32 v8, v13, s1
	global_store_dword v[4:5], v14, off offset:2200
	v_pack_b32_f16 v14, v64, v40
	v_lshrrev_b32_e32 v8, 7, v8
	global_store_dword v[4:5], v14, off offset:3740
	v_pack_b32_f16 v14, v69, v63
	v_mul_u32_u24_e32 v8, 0x604, v8
	global_store_dword v[6:7], v14, off offset:1184
	v_lshl_add_u64 v[14:15], v[8:9], 2, v[4:5]
	v_pack_b32_f16 v8, v41, v61
	global_store_dword v[14:15], v8, off offset:880
	v_pack_b32_f16 v8, v55, v50
	global_store_dword v[14:15], v8, off offset:2420
	v_pack_b32_f16 v8, v88, v86
	global_store_dword v[14:15], v8, off offset:3960
	v_add_co_u32_e32 v14, vcc, s0, v14
	v_pack_b32_f16 v8, v96, v92
	s_nop 0
	v_addc_co_u32_e32 v15, vcc, 0, v15, vcc
	global_store_dword v[14:15], v8, off offset:1404
	v_pack_b32_f16 v8, v80, v67
	global_store_dword v[14:15], v8, off offset:2944
	v_pack_b32_f16 v8, v46, v74
	;; [unrolled: 2-line block ×6, first 2 shown]
	global_store_dword v[6:7], v8, off offset:3164
	v_mul_hi_u32 v6, v12, s1
	v_lshrrev_b32_e32 v6, 7, v6
	v_mul_u32_u24_e32 v8, 0x604, v6
	v_lshl_add_u64 v[4:5], v[8:9], 2, v[4:5]
	s_mov_b64 s[0:1], 0x528
	v_lshl_add_u64 v[6:7], v[4:5], 0, s[0:1]
	v_pack_b32_f16 v8, v51, v52
	global_store_dword v[6:7], v3, off offset:3080
	v_pack_b32_f16 v6, v10, v2
	v_add_co_u32_e32 v2, vcc, 0x1000, v4
	global_store_dword v[4:5], v8, off offset:1320
	v_pack_b32_f16 v8, v54, v53
	v_addc_co_u32_e32 v3, vcc, 0, v5, vcc
	global_store_dword v[4:5], v8, off offset:2860
	global_store_dword v[2:3], v6, off offset:1844
	;; [unrolled: 1-line block ×3, first 2 shown]
.LBB0_21:
	s_endpgm
	.section	.rodata,"a",@progbits
	.p2align	6, 0x0
	.amdhsa_kernel fft_rtc_fwd_len1925_factors_7_11_5_5_wgs_55_tpt_55_halfLds_half_ip_CI_unitstride_sbrr_dirReg
		.amdhsa_group_segment_fixed_size 0
		.amdhsa_private_segment_fixed_size 0
		.amdhsa_kernarg_size 88
		.amdhsa_user_sgpr_count 2
		.amdhsa_user_sgpr_dispatch_ptr 0
		.amdhsa_user_sgpr_queue_ptr 0
		.amdhsa_user_sgpr_kernarg_segment_ptr 1
		.amdhsa_user_sgpr_dispatch_id 0
		.amdhsa_user_sgpr_kernarg_preload_length 0
		.amdhsa_user_sgpr_kernarg_preload_offset 0
		.amdhsa_user_sgpr_private_segment_size 0
		.amdhsa_uses_dynamic_stack 0
		.amdhsa_enable_private_segment 0
		.amdhsa_system_sgpr_workgroup_id_x 1
		.amdhsa_system_sgpr_workgroup_id_y 0
		.amdhsa_system_sgpr_workgroup_id_z 0
		.amdhsa_system_sgpr_workgroup_info 0
		.amdhsa_system_vgpr_workitem_id 0
		.amdhsa_next_free_vgpr 164
		.amdhsa_next_free_sgpr 22
		.amdhsa_accum_offset 164
		.amdhsa_reserve_vcc 1
		.amdhsa_float_round_mode_32 0
		.amdhsa_float_round_mode_16_64 0
		.amdhsa_float_denorm_mode_32 3
		.amdhsa_float_denorm_mode_16_64 3
		.amdhsa_dx10_clamp 1
		.amdhsa_ieee_mode 1
		.amdhsa_fp16_overflow 0
		.amdhsa_tg_split 0
		.amdhsa_exception_fp_ieee_invalid_op 0
		.amdhsa_exception_fp_denorm_src 0
		.amdhsa_exception_fp_ieee_div_zero 0
		.amdhsa_exception_fp_ieee_overflow 0
		.amdhsa_exception_fp_ieee_underflow 0
		.amdhsa_exception_fp_ieee_inexact 0
		.amdhsa_exception_int_div_zero 0
	.end_amdhsa_kernel
	.text
.Lfunc_end0:
	.size	fft_rtc_fwd_len1925_factors_7_11_5_5_wgs_55_tpt_55_halfLds_half_ip_CI_unitstride_sbrr_dirReg, .Lfunc_end0-fft_rtc_fwd_len1925_factors_7_11_5_5_wgs_55_tpt_55_halfLds_half_ip_CI_unitstride_sbrr_dirReg
                                        ; -- End function
	.section	.AMDGPU.csdata,"",@progbits
; Kernel info:
; codeLenInByte = 24680
; NumSgprs: 28
; NumVgprs: 164
; NumAgprs: 0
; TotalNumVgprs: 164
; ScratchSize: 0
; MemoryBound: 0
; FloatMode: 240
; IeeeMode: 1
; LDSByteSize: 0 bytes/workgroup (compile time only)
; SGPRBlocks: 3
; VGPRBlocks: 20
; NumSGPRsForWavesPerEU: 28
; NumVGPRsForWavesPerEU: 164
; AccumOffset: 164
; Occupancy: 3
; WaveLimiterHint : 1
; COMPUTE_PGM_RSRC2:SCRATCH_EN: 0
; COMPUTE_PGM_RSRC2:USER_SGPR: 2
; COMPUTE_PGM_RSRC2:TRAP_HANDLER: 0
; COMPUTE_PGM_RSRC2:TGID_X_EN: 1
; COMPUTE_PGM_RSRC2:TGID_Y_EN: 0
; COMPUTE_PGM_RSRC2:TGID_Z_EN: 0
; COMPUTE_PGM_RSRC2:TIDIG_COMP_CNT: 0
; COMPUTE_PGM_RSRC3_GFX90A:ACCUM_OFFSET: 40
; COMPUTE_PGM_RSRC3_GFX90A:TG_SPLIT: 0
	.text
	.p2alignl 6, 3212836864
	.fill 256, 4, 3212836864
	.type	__hip_cuid_61075b17b64d2fde,@object ; @__hip_cuid_61075b17b64d2fde
	.section	.bss,"aw",@nobits
	.globl	__hip_cuid_61075b17b64d2fde
__hip_cuid_61075b17b64d2fde:
	.byte	0                               ; 0x0
	.size	__hip_cuid_61075b17b64d2fde, 1

	.ident	"AMD clang version 19.0.0git (https://github.com/RadeonOpenCompute/llvm-project roc-6.4.0 25133 c7fe45cf4b819c5991fe208aaa96edf142730f1d)"
	.section	".note.GNU-stack","",@progbits
	.addrsig
	.addrsig_sym __hip_cuid_61075b17b64d2fde
	.amdgpu_metadata
---
amdhsa.kernels:
  - .agpr_count:     0
    .args:
      - .actual_access:  read_only
        .address_space:  global
        .offset:         0
        .size:           8
        .value_kind:     global_buffer
      - .offset:         8
        .size:           8
        .value_kind:     by_value
      - .actual_access:  read_only
        .address_space:  global
        .offset:         16
        .size:           8
        .value_kind:     global_buffer
      - .actual_access:  read_only
        .address_space:  global
        .offset:         24
        .size:           8
        .value_kind:     global_buffer
      - .offset:         32
        .size:           8
        .value_kind:     by_value
      - .actual_access:  read_only
        .address_space:  global
        .offset:         40
        .size:           8
        .value_kind:     global_buffer
      - .actual_access:  read_only
        .address_space:  global
        .offset:         48
        .size:           8
        .value_kind:     global_buffer
      - .offset:         56
        .size:           4
        .value_kind:     by_value
      - .actual_access:  read_only
        .address_space:  global
        .offset:         64
        .size:           8
        .value_kind:     global_buffer
      - .actual_access:  read_only
        .address_space:  global
        .offset:         72
        .size:           8
        .value_kind:     global_buffer
      - .address_space:  global
        .offset:         80
        .size:           8
        .value_kind:     global_buffer
    .group_segment_fixed_size: 0
    .kernarg_segment_align: 8
    .kernarg_segment_size: 88
    .language:       OpenCL C
    .language_version:
      - 2
      - 0
    .max_flat_workgroup_size: 55
    .name:           fft_rtc_fwd_len1925_factors_7_11_5_5_wgs_55_tpt_55_halfLds_half_ip_CI_unitstride_sbrr_dirReg
    .private_segment_fixed_size: 0
    .sgpr_count:     28
    .sgpr_spill_count: 0
    .symbol:         fft_rtc_fwd_len1925_factors_7_11_5_5_wgs_55_tpt_55_halfLds_half_ip_CI_unitstride_sbrr_dirReg.kd
    .uniform_work_group_size: 1
    .uses_dynamic_stack: false
    .vgpr_count:     164
    .vgpr_spill_count: 0
    .wavefront_size: 64
amdhsa.target:   amdgcn-amd-amdhsa--gfx950
amdhsa.version:
  - 1
  - 2
...

	.end_amdgpu_metadata
